;; amdgpu-corpus repo=ROCm/rocFFT kind=compiled arch=gfx1030 opt=O3
	.text
	.amdgcn_target "amdgcn-amd-amdhsa--gfx1030"
	.amdhsa_code_object_version 6
	.protected	fft_rtc_fwd_len2160_factors_10_6_6_6_wgs_60_tpt_60_halfLds_dp_op_CI_CI_unitstride_sbrr_R2C_dirReg ; -- Begin function fft_rtc_fwd_len2160_factors_10_6_6_6_wgs_60_tpt_60_halfLds_dp_op_CI_CI_unitstride_sbrr_R2C_dirReg
	.globl	fft_rtc_fwd_len2160_factors_10_6_6_6_wgs_60_tpt_60_halfLds_dp_op_CI_CI_unitstride_sbrr_R2C_dirReg
	.p2align	8
	.type	fft_rtc_fwd_len2160_factors_10_6_6_6_wgs_60_tpt_60_halfLds_dp_op_CI_CI_unitstride_sbrr_R2C_dirReg,@function
fft_rtc_fwd_len2160_factors_10_6_6_6_wgs_60_tpt_60_halfLds_dp_op_CI_CI_unitstride_sbrr_R2C_dirReg: ; @fft_rtc_fwd_len2160_factors_10_6_6_6_wgs_60_tpt_60_halfLds_dp_op_CI_CI_unitstride_sbrr_R2C_dirReg
; %bb.0:
	s_clause 0x2
	s_load_dwordx4 s[12:15], s[4:5], 0x0
	s_load_dwordx4 s[8:11], s[4:5], 0x58
	;; [unrolled: 1-line block ×3, first 2 shown]
	v_mul_u32_u24_e32 v1, 0x445, v0
	v_mov_b32_e32 v3, 0
	s_mov_b64 s[30:31], s[2:3]
	s_mov_b64 s[28:29], s[0:1]
	v_add_nc_u32_sdwa v5, s6, v1 dst_sel:DWORD dst_unused:UNUSED_PAD src0_sel:DWORD src1_sel:WORD_1
	v_mov_b32_e32 v1, 0
	v_mov_b32_e32 v6, v3
	;; [unrolled: 1-line block ×3, first 2 shown]
	s_add_u32 s28, s28, s7
	s_addc_u32 s29, s29, 0
	s_waitcnt lgkmcnt(0)
	v_cmp_lt_u64_e64 s0, s[14:15], 2
	s_and_b32 vcc_lo, exec_lo, s0
	s_cbranch_vccnz .LBB0_8
; %bb.1:
	s_load_dwordx2 s[0:1], s[4:5], 0x10
	v_mov_b32_e32 v1, 0
	v_mov_b32_e32 v2, 0
	s_add_u32 s2, s18, 8
	s_addc_u32 s3, s19, 0
	s_add_u32 s6, s16, 8
	s_addc_u32 s7, s17, 0
	v_mov_b32_e32 v165, v2
	v_mov_b32_e32 v164, v1
	s_mov_b64 s[22:23], 1
	s_waitcnt lgkmcnt(0)
	s_add_u32 s20, s0, 8
	s_addc_u32 s21, s1, 0
.LBB0_2:                                ; =>This Inner Loop Header: Depth=1
	s_load_dwordx2 s[24:25], s[20:21], 0x0
                                        ; implicit-def: $vgpr168_vgpr169
	s_mov_b32 s0, exec_lo
	s_waitcnt lgkmcnt(0)
	v_or_b32_e32 v4, s25, v6
	v_cmpx_ne_u64_e32 0, v[3:4]
	s_xor_b32 s1, exec_lo, s0
	s_cbranch_execz .LBB0_4
; %bb.3:                                ;   in Loop: Header=BB0_2 Depth=1
	v_cvt_f32_u32_e32 v4, s24
	v_cvt_f32_u32_e32 v7, s25
	s_sub_u32 s0, 0, s24
	s_subb_u32 s26, 0, s25
	v_fmac_f32_e32 v4, 0x4f800000, v7
	v_rcp_f32_e32 v4, v4
	v_mul_f32_e32 v4, 0x5f7ffffc, v4
	v_mul_f32_e32 v7, 0x2f800000, v4
	v_trunc_f32_e32 v7, v7
	v_fmac_f32_e32 v4, 0xcf800000, v7
	v_cvt_u32_f32_e32 v7, v7
	v_cvt_u32_f32_e32 v4, v4
	v_mul_lo_u32 v8, s0, v7
	v_mul_hi_u32 v9, s0, v4
	v_mul_lo_u32 v10, s26, v4
	v_add_nc_u32_e32 v8, v9, v8
	v_mul_lo_u32 v9, s0, v4
	v_add_nc_u32_e32 v8, v8, v10
	v_mul_hi_u32 v10, v4, v9
	v_mul_lo_u32 v11, v4, v8
	v_mul_hi_u32 v12, v4, v8
	v_mul_hi_u32 v13, v7, v9
	v_mul_lo_u32 v9, v7, v9
	v_mul_hi_u32 v14, v7, v8
	v_mul_lo_u32 v8, v7, v8
	v_add_co_u32 v10, vcc_lo, v10, v11
	v_add_co_ci_u32_e32 v11, vcc_lo, 0, v12, vcc_lo
	v_add_co_u32 v9, vcc_lo, v10, v9
	v_add_co_ci_u32_e32 v9, vcc_lo, v11, v13, vcc_lo
	v_add_co_ci_u32_e32 v10, vcc_lo, 0, v14, vcc_lo
	v_add_co_u32 v8, vcc_lo, v9, v8
	v_add_co_ci_u32_e32 v9, vcc_lo, 0, v10, vcc_lo
	v_add_co_u32 v4, vcc_lo, v4, v8
	v_add_co_ci_u32_e32 v7, vcc_lo, v7, v9, vcc_lo
	v_mul_hi_u32 v8, s0, v4
	v_mul_lo_u32 v10, s26, v4
	v_mul_lo_u32 v9, s0, v7
	v_add_nc_u32_e32 v8, v8, v9
	v_mul_lo_u32 v9, s0, v4
	v_add_nc_u32_e32 v8, v8, v10
	v_mul_hi_u32 v10, v4, v9
	v_mul_lo_u32 v11, v4, v8
	v_mul_hi_u32 v12, v4, v8
	v_mul_hi_u32 v13, v7, v9
	v_mul_lo_u32 v9, v7, v9
	v_mul_hi_u32 v14, v7, v8
	v_mul_lo_u32 v8, v7, v8
	v_add_co_u32 v10, vcc_lo, v10, v11
	v_add_co_ci_u32_e32 v11, vcc_lo, 0, v12, vcc_lo
	v_add_co_u32 v9, vcc_lo, v10, v9
	v_add_co_ci_u32_e32 v9, vcc_lo, v11, v13, vcc_lo
	v_add_co_ci_u32_e32 v10, vcc_lo, 0, v14, vcc_lo
	v_add_co_u32 v8, vcc_lo, v9, v8
	v_add_co_ci_u32_e32 v9, vcc_lo, 0, v10, vcc_lo
	v_add_co_u32 v4, vcc_lo, v4, v8
	v_add_co_ci_u32_e32 v11, vcc_lo, v7, v9, vcc_lo
	v_mul_hi_u32 v13, v5, v4
	v_mad_u64_u32 v[9:10], null, v6, v4, 0
	v_mad_u64_u32 v[7:8], null, v5, v11, 0
	;; [unrolled: 1-line block ×3, first 2 shown]
	v_add_co_u32 v4, vcc_lo, v13, v7
	v_add_co_ci_u32_e32 v7, vcc_lo, 0, v8, vcc_lo
	v_add_co_u32 v4, vcc_lo, v4, v9
	v_add_co_ci_u32_e32 v4, vcc_lo, v7, v10, vcc_lo
	v_add_co_ci_u32_e32 v7, vcc_lo, 0, v12, vcc_lo
	v_add_co_u32 v4, vcc_lo, v4, v11
	v_add_co_ci_u32_e32 v9, vcc_lo, 0, v7, vcc_lo
	v_mul_lo_u32 v10, s25, v4
	v_mad_u64_u32 v[7:8], null, s24, v4, 0
	v_mul_lo_u32 v11, s24, v9
	v_sub_co_u32 v7, vcc_lo, v5, v7
	v_add3_u32 v8, v8, v11, v10
	v_sub_nc_u32_e32 v10, v6, v8
	v_subrev_co_ci_u32_e64 v10, s0, s25, v10, vcc_lo
	v_add_co_u32 v11, s0, v4, 2
	v_add_co_ci_u32_e64 v12, s0, 0, v9, s0
	v_sub_co_u32 v13, s0, v7, s24
	v_sub_co_ci_u32_e32 v8, vcc_lo, v6, v8, vcc_lo
	v_subrev_co_ci_u32_e64 v10, s0, 0, v10, s0
	v_cmp_le_u32_e32 vcc_lo, s24, v13
	v_cmp_eq_u32_e64 s0, s25, v8
	v_cndmask_b32_e64 v13, 0, -1, vcc_lo
	v_cmp_le_u32_e32 vcc_lo, s25, v10
	v_cndmask_b32_e64 v14, 0, -1, vcc_lo
	v_cmp_le_u32_e32 vcc_lo, s24, v7
	;; [unrolled: 2-line block ×3, first 2 shown]
	v_cndmask_b32_e64 v15, 0, -1, vcc_lo
	v_cmp_eq_u32_e32 vcc_lo, s25, v10
	v_cndmask_b32_e64 v7, v15, v7, s0
	v_cndmask_b32_e32 v10, v14, v13, vcc_lo
	v_add_co_u32 v13, vcc_lo, v4, 1
	v_add_co_ci_u32_e32 v14, vcc_lo, 0, v9, vcc_lo
	v_cmp_ne_u32_e32 vcc_lo, 0, v10
	v_cndmask_b32_e32 v8, v14, v12, vcc_lo
	v_cndmask_b32_e32 v10, v13, v11, vcc_lo
	v_cmp_ne_u32_e32 vcc_lo, 0, v7
	v_cndmask_b32_e32 v169, v9, v8, vcc_lo
	v_cndmask_b32_e32 v168, v4, v10, vcc_lo
.LBB0_4:                                ;   in Loop: Header=BB0_2 Depth=1
	s_andn2_saveexec_b32 s0, s1
	s_cbranch_execz .LBB0_6
; %bb.5:                                ;   in Loop: Header=BB0_2 Depth=1
	v_cvt_f32_u32_e32 v4, s24
	s_sub_i32 s1, 0, s24
	v_mov_b32_e32 v169, v3
	v_rcp_iflag_f32_e32 v4, v4
	v_mul_f32_e32 v4, 0x4f7ffffe, v4
	v_cvt_u32_f32_e32 v4, v4
	v_mul_lo_u32 v7, s1, v4
	v_mul_hi_u32 v7, v4, v7
	v_add_nc_u32_e32 v4, v4, v7
	v_mul_hi_u32 v4, v5, v4
	v_mul_lo_u32 v7, v4, s24
	v_add_nc_u32_e32 v8, 1, v4
	v_sub_nc_u32_e32 v7, v5, v7
	v_subrev_nc_u32_e32 v9, s24, v7
	v_cmp_le_u32_e32 vcc_lo, s24, v7
	v_cndmask_b32_e32 v7, v7, v9, vcc_lo
	v_cndmask_b32_e32 v4, v4, v8, vcc_lo
	v_cmp_le_u32_e32 vcc_lo, s24, v7
	v_add_nc_u32_e32 v8, 1, v4
	v_cndmask_b32_e32 v168, v4, v8, vcc_lo
.LBB0_6:                                ;   in Loop: Header=BB0_2 Depth=1
	s_or_b32 exec_lo, exec_lo, s0
	v_mul_lo_u32 v4, v169, s24
	v_mul_lo_u32 v9, v168, s25
	s_load_dwordx2 s[0:1], s[6:7], 0x0
	v_mad_u64_u32 v[7:8], null, v168, s24, 0
	s_load_dwordx2 s[24:25], s[2:3], 0x0
	s_add_u32 s22, s22, 1
	s_addc_u32 s23, s23, 0
	s_add_u32 s2, s2, 8
	s_addc_u32 s3, s3, 0
	s_add_u32 s6, s6, 8
	v_add3_u32 v4, v8, v9, v4
	v_sub_co_u32 v5, vcc_lo, v5, v7
	s_addc_u32 s7, s7, 0
	s_add_u32 s20, s20, 8
	v_sub_co_ci_u32_e32 v4, vcc_lo, v6, v4, vcc_lo
	s_addc_u32 s21, s21, 0
	s_waitcnt lgkmcnt(0)
	v_mul_lo_u32 v6, s0, v4
	v_mul_lo_u32 v7, s1, v5
	v_mad_u64_u32 v[1:2], null, s0, v5, v[1:2]
	v_mul_lo_u32 v4, s24, v4
	v_mul_lo_u32 v8, s25, v5
	v_mad_u64_u32 v[164:165], null, s24, v5, v[164:165]
	v_cmp_ge_u64_e64 s0, s[22:23], s[14:15]
	v_add3_u32 v2, v7, v2, v6
	v_add3_u32 v165, v8, v165, v4
	s_and_b32 vcc_lo, exec_lo, s0
	s_cbranch_vccnz .LBB0_9
; %bb.7:                                ;   in Loop: Header=BB0_2 Depth=1
	v_mov_b32_e32 v5, v168
	v_mov_b32_e32 v6, v169
	s_branch .LBB0_2
.LBB0_8:
	v_mov_b32_e32 v165, v2
	v_mov_b32_e32 v169, v6
	;; [unrolled: 1-line block ×4, first 2 shown]
.LBB0_9:
	s_load_dwordx2 s[0:1], s[4:5], 0x28
	v_mul_hi_u32 v3, 0x4444445, v0
	s_lshl_b64 s[4:5], s[14:15], 3
                                        ; implicit-def: $vgpr162
                                        ; implicit-def: $vgpr166
                                        ; implicit-def: $vgpr171
                                        ; implicit-def: $vgpr170
	s_add_u32 s2, s18, s4
	s_addc_u32 s3, s19, s5
	s_waitcnt lgkmcnt(0)
	v_cmp_gt_u64_e32 vcc_lo, s[0:1], v[168:169]
	v_cmp_le_u64_e64 s0, s[0:1], v[168:169]
	s_and_saveexec_b32 s1, s0
	s_xor_b32 s0, exec_lo, s1
; %bb.10:
	v_mul_u32_u24_e32 v1, 60, v3
                                        ; implicit-def: $vgpr3
	v_sub_nc_u32_e32 v162, v0, v1
                                        ; implicit-def: $vgpr0
                                        ; implicit-def: $vgpr1_vgpr2
	v_add_nc_u32_e32 v166, 60, v162
	v_add_nc_u32_e32 v171, 0x78, v162
	;; [unrolled: 1-line block ×3, first 2 shown]
; %bb.11:
	s_andn2_saveexec_b32 s1, s0
	s_cbranch_execz .LBB0_13
; %bb.12:
	s_add_u32 s4, s16, s4
	s_addc_u32 s5, s17, s5
	v_mul_u32_u24_e32 v3, 60, v3
	s_load_dwordx2 s[4:5], s[4:5], 0x0
	v_sub_nc_u32_e32 v162, v0, v3
	v_lshlrev_b64 v[0:1], 4, v[1:2]
	v_lshlrev_b32_e32 v144, 4, v162
	v_add_nc_u32_e32 v166, 60, v162
	v_add_nc_u32_e32 v171, 0x78, v162
	;; [unrolled: 1-line block ×3, first 2 shown]
	s_waitcnt lgkmcnt(0)
	v_mul_lo_u32 v6, s5, v168
	v_mul_lo_u32 v7, s4, v169
	v_mad_u64_u32 v[4:5], null, s4, v168, 0
	v_add3_u32 v5, v5, v7, v6
	v_lshlrev_b64 v[3:4], 4, v[4:5]
	v_add_co_u32 v2, s0, s8, v3
	v_add_co_ci_u32_e64 v3, s0, s9, v4, s0
	v_or_b32_e32 v4, 0x3c00, v144
	v_add_co_u32 v0, s0, v2, v0
	v_add_co_ci_u32_e64 v1, s0, v3, v1, s0
	v_or_b32_e32 v2, 0x7800, v144
	v_add_co_u32 v84, s0, v0, v144
	v_add_co_ci_u32_e64 v85, s0, 0, v1, s0
	v_add_co_u32 v8, s0, v0, v2
	v_add_co_ci_u32_e64 v9, s0, 0, v1, s0
	;; [unrolled: 2-line block ×19, first 2 shown]
	s_clause 0x23
	global_load_dwordx4 v[0:3], v[84:85], off
	global_load_dwordx4 v[4:7], v[84:85], off offset:960
	global_load_dwordx4 v[8:11], v[8:9], off
	global_load_dwordx4 v[12:15], v[84:85], off offset:1920
	global_load_dwordx4 v[16:19], v[20:21], off offset:832
	;; [unrolled: 1-line block ×8, first 2 shown]
	global_load_dwordx4 v[44:47], v[44:45], off
	global_load_dwordx4 v[48:51], v[72:73], off offset:1984
	global_load_dwordx4 v[52:55], v[52:53], off offset:1408
	;; [unrolled: 1-line block ×24, first 2 shown]
	v_add_nc_u32_e32 v144, 0, v144
	s_waitcnt vmcnt(35)
	ds_write_b128 v144, v[0:3]
	s_waitcnt vmcnt(34)
	ds_write_b128 v144, v[4:7] offset:960
	s_waitcnt vmcnt(32)
	ds_write_b128 v144, v[12:15] offset:1920
	;; [unrolled: 2-line block ×3, first 2 shown]
	ds_write_b128 v144, v[8:11] offset:30720
	ds_write_b128 v144, v[16:19] offset:2880
	;; [unrolled: 1-line block ×8, first 2 shown]
	s_waitcnt vmcnt(22)
	ds_write_b128 v144, v[52:55] offset:9600
	s_waitcnt vmcnt(21)
	ds_write_b128 v144, v[56:59] offset:10560
	;; [unrolled: 2-line block ×6, first 2 shown]
	ds_write_b128 v144, v[48:51] offset:16320
	s_waitcnt vmcnt(16)
	ds_write_b128 v144, v[76:79] offset:17280
	s_waitcnt vmcnt(15)
	;; [unrolled: 2-line block ×17, first 2 shown]
	ds_write_b128 v144, v[140:143] offset:33600
.LBB0_13:
	s_or_b32 exec_lo, exec_lo, s1
	v_lshl_add_u32 v209, v162, 4, 0
	s_load_dwordx2 s[2:3], s[2:3], 0x0
	s_waitcnt lgkmcnt(0)
	s_barrier
	buffer_gl0_inv
	ds_read_b128 v[0:3], v209 offset:24192
	ds_read_b128 v[4:7], v209 offset:17280
	;; [unrolled: 1-line block ×5, first 2 shown]
	ds_read_b128 v[20:23], v209
	ds_read_b128 v[56:59], v209 offset:18240
	ds_read_b128 v[44:47], v209 offset:25152
	;; [unrolled: 1-line block ×14, first 2 shown]
	s_mov_b32 s4, 0x134454ff
	s_mov_b32 s5, 0x3fee6f0e
	;; [unrolled: 1-line block ×12, first 2 shown]
	s_waitcnt lgkmcnt(18)
	v_add_f64 v[80:81], v[4:5], v[0:1]
	v_add_f64 v[86:87], v[6:7], v[2:3]
	s_waitcnt lgkmcnt(16)
	v_add_f64 v[82:83], v[10:11], v[14:15]
	v_add_f64 v[84:85], v[8:9], v[12:13]
	v_add_f64 v[90:91], v[10:11], -v[14:15]
	v_add_f64 v[94:95], v[6:7], -v[2:3]
	;; [unrolled: 1-line block ×4, first 2 shown]
	s_waitcnt lgkmcnt(7)
	v_add_f64 v[98:99], v[28:29], v[32:33]
	v_add_f64 v[106:107], v[30:31], v[34:35]
	v_add_f64 v[120:121], v[8:9], -v[4:5]
	v_add_f64 v[122:123], v[12:13], -v[0:1]
	s_waitcnt lgkmcnt(2)
	v_add_f64 v[116:117], v[16:17], v[36:37]
	v_add_f64 v[118:119], v[18:19], v[38:39]
	v_add_f64 v[124:125], v[4:5], -v[8:9]
	v_add_f64 v[128:129], v[6:7], -v[10:11]
	;; [unrolled: 1-line block ×4, first 2 shown]
	v_add_f64 v[88:89], v[20:21], v[16:17]
	v_add_f64 v[144:145], v[10:11], -v[6:7]
	v_add_f64 v[146:147], v[14:15], -v[2:3]
	v_add_f64 v[92:93], v[22:23], v[18:19]
	v_fma_f64 v[80:81], v[80:81], -0.5, v[24:25]
	v_fma_f64 v[86:87], v[86:87], -0.5, v[26:27]
	v_fma_f64 v[82:83], v[82:83], -0.5, v[26:27]
	v_fma_f64 v[84:85], v[84:85], -0.5, v[24:25]
	v_add_f64 v[8:9], v[24:25], v[8:9]
	v_add_f64 v[10:11], v[26:27], v[10:11]
	v_add_f64 v[102:103], v[16:17], -v[28:29]
	v_add_f64 v[104:105], v[28:29], -v[16:17]
	;; [unrolled: 1-line block ×4, first 2 shown]
	v_fma_f64 v[24:25], v[98:99], -0.5, v[20:21]
	v_fma_f64 v[26:27], v[106:107], -0.5, v[22:23]
	v_add_f64 v[98:99], v[120:121], v[122:123]
	v_add_f64 v[100:101], v[30:31], -v[34:35]
	v_add_f64 v[108:109], v[28:29], -v[32:33]
	;; [unrolled: 1-line block ×6, first 2 shown]
	v_fma_f64 v[20:21], v[116:117], -0.5, v[20:21]
	v_fma_f64 v[22:23], v[118:119], -0.5, v[22:23]
	v_add_f64 v[116:117], v[124:125], v[130:131]
	v_fma_f64 v[126:127], v[90:91], s[4:5], v[80:81]
	v_fma_f64 v[80:81], v[90:91], s[14:15], v[80:81]
	;; [unrolled: 1-line block ×8, first 2 shown]
	v_add_f64 v[118:119], v[128:129], v[132:133]
	v_add_f64 v[28:29], v[88:89], v[28:29]
	v_add_f64 v[88:89], v[144:145], v[146:147]
	v_add_f64 v[18:19], v[30:31], -v[18:19]
	v_add_f64 v[30:31], v[92:93], v[30:31]
	v_add_f64 v[4:5], v[8:9], v[4:5]
	;; [unrolled: 1-line block ×3, first 2 shown]
	v_fma_f64 v[92:93], v[114:115], s[4:5], v[24:25]
	v_add_f64 v[124:125], v[34:35], -v[38:39]
	v_add_f64 v[8:9], v[102:103], v[138:139]
	v_add_f64 v[10:11], v[110:111], v[142:143]
	;; [unrolled: 1-line block ×3, first 2 shown]
	v_fma_f64 v[104:105], v[100:101], s[14:15], v[20:21]
	v_fma_f64 v[20:21], v[100:101], s[4:5], v[20:21]
	;; [unrolled: 1-line block ×13, first 2 shown]
	v_add_f64 v[28:29], v[28:29], v[32:33]
	v_add_f64 v[30:31], v[30:31], v[34:35]
	;; [unrolled: 1-line block ×4, first 2 shown]
	v_fma_f64 v[4:5], v[100:101], s[6:7], v[92:93]
	v_add_f64 v[18:19], v[18:19], v[124:125]
	v_add_f64 v[160:161], v[56:57], v[44:45]
	;; [unrolled: 1-line block ×5, first 2 shown]
	v_fma_f64 v[20:21], v[114:115], s[16:17], v[20:21]
	v_fma_f64 v[96:97], v[98:99], s[8:9], v[106:107]
	;; [unrolled: 1-line block ×15, first 2 shown]
	v_add_f64 v[28:29], v[28:29], v[36:37]
	v_add_f64 v[30:31], v[30:31], v[38:39]
	;; [unrolled: 1-line block ×4, first 2 shown]
	v_fma_f64 v[4:5], v[8:9], s[8:9], v[4:5]
	v_add_f64 v[180:181], v[58:59], v[46:47]
	v_add_f64 v[182:183], v[70:71], -v[42:43]
	v_fma_f64 v[20:21], v[102:103], s[8:9], v[20:21]
	v_mul_f64 v[34:35], v[96:97], s[18:19]
	v_mul_f64 v[86:87], v[96:97], s[16:17]
	v_fma_f64 v[92:93], v[16:17], s[16:17], v[106:107]
	v_mul_f64 v[94:95], v[110:111], s[4:5]
	v_mul_f64 v[96:97], v[112:113], s[14:15]
	;; [unrolled: 3-line block ×3, first 2 shown]
	v_mul_f64 v[100:101], v[80:81], s[18:19]
	v_mul_f64 v[104:105], v[90:91], s[18:19]
	v_fma_f64 v[6:7], v[10:11], s[8:9], v[6:7]
	s_waitcnt lgkmcnt(0)
	v_fma_f64 v[160:161], v[160:161], -0.5, v[76:77]
	v_fma_f64 v[8:9], v[8:9], s[8:9], v[24:25]
	v_fma_f64 v[10:11], v[10:11], s[8:9], v[26:27]
	v_add_f64 v[178:179], v[74:75], v[62:63]
	v_add_f64 v[184:185], v[46:47], -v[42:43]
	v_add_f64 v[190:191], v[60:61], v[48:49]
	v_add_f64 v[114:115], v[30:31], v[2:3]
	v_add_f64 v[106:107], v[30:31], -v[2:3]
	v_add_f64 v[192:193], v[62:63], v[50:51]
	v_add_f64 v[194:195], v[64:65], -v[60:61]
	v_add_f64 v[196:197], v[62:63], -v[50:51]
	v_fma_f64 v[12:13], v[32:33], s[6:7], v[34:35]
	v_fma_f64 v[14:15], v[32:33], s[18:19], v[86:87]
	;; [unrolled: 1-line block ×7, first 2 shown]
	v_fma_f64 v[18:19], v[82:83], s[4:5], -v[22:23]
	v_fma_f64 v[22:23], v[84:85], s[14:15], -v[98:99]
	;; [unrolled: 1-line block ×4, first 2 shown]
	v_add_f64 v[112:113], v[28:29], v[0:1]
	v_add_f64 v[104:105], v[28:29], -v[0:1]
	v_mul_u32_u24_e32 v0, 10, v162
	s_mov_b32 s1, exec_lo
	v_lshl_add_u32 v163, v0, 4, 0
	v_add_f64 v[120:121], v[4:5], v[12:13]
	v_add_f64 v[122:123], v[6:7], v[14:15]
	v_add_f64 v[88:89], v[4:5], -v[12:13]
	v_add_f64 v[90:91], v[6:7], -v[14:15]
	v_add_f64 v[108:109], v[32:33], v[36:37]
	v_add_f64 v[110:111], v[34:35], v[38:39]
	v_add_f64 v[84:85], v[32:33], -v[36:37]
	v_add_f64 v[116:117], v[20:21], v[18:19]
	v_add_f64 v[118:119], v[16:17], v[22:23]
	;; [unrolled: 1-line block ×4, first 2 shown]
	v_add_f64 v[86:87], v[34:35], -v[38:39]
	v_add_f64 v[80:81], v[20:21], -v[18:19]
	;; [unrolled: 1-line block ×5, first 2 shown]
	ds_read_b128 v[92:95], v209 offset:1920
	ds_read_b128 v[0:3], v209 offset:2880
	;; [unrolled: 1-line block ×20, first 2 shown]
	s_waitcnt lgkmcnt(0)
	s_barrier
	buffer_gl0_inv
	ds_write_b128 v163, v[112:115]
	ds_write_b128 v163, v[120:123] offset:16
	v_add_f64 v[112:113], v[58:59], -v[46:47]
	v_add_f64 v[114:115], v[56:57], -v[44:45]
	v_fma_f64 v[120:121], v[172:173], -0.5, v[78:79]
	v_fma_f64 v[122:123], v[174:175], -0.5, v[76:77]
	v_add_f64 v[76:77], v[76:77], v[68:69]
	ds_write_b128 v163, v[108:111] offset:32
	ds_write_b128 v163, v[116:119] offset:48
	;; [unrolled: 1-line block ×4, first 2 shown]
	v_add_f64 v[104:105], v[176:177], v[64:65]
	v_add_f64 v[116:117], v[68:69], -v[56:57]
	v_add_f64 v[118:119], v[68:69], -v[40:41]
	v_fma_f64 v[140:141], v[180:181], -0.5, v[78:79]
	v_add_f64 v[142:143], v[40:41], -v[44:45]
	v_fma_f64 v[172:173], v[182:183], s[4:5], v[160:161]
	v_add_f64 v[176:177], v[66:67], v[54:55]
	v_add_f64 v[106:107], v[178:179], v[66:67]
	;; [unrolled: 1-line block ×3, first 2 shown]
	v_add_f64 v[68:69], v[56:57], -v[68:69]
	v_add_f64 v[178:179], v[58:59], -v[70:71]
	;; [unrolled: 1-line block ×3, first 2 shown]
	v_add_f64 v[78:79], v[78:79], v[70:71]
	v_add_f64 v[174:175], v[60:61], -v[64:65]
	v_add_f64 v[70:71], v[70:71], -v[58:59]
	;; [unrolled: 1-line block ×4, first 2 shown]
	v_fma_f64 v[186:187], v[114:115], s[4:5], v[120:121]
	v_fma_f64 v[188:189], v[112:113], s[14:15], v[122:123]
	v_add_f64 v[56:57], v[76:77], v[56:57]
	v_fma_f64 v[76:77], v[114:115], s[14:15], v[120:121]
	v_fma_f64 v[122:123], v[112:113], s[4:5], v[122:123]
	v_add_f64 v[120:121], v[42:43], -v[46:47]
	v_add_f64 v[64:65], v[64:65], -v[52:53]
	v_add_f64 v[104:105], v[104:105], v[52:53]
	v_fma_f64 v[198:199], v[118:119], s[14:15], v[140:141]
	v_add_f64 v[116:117], v[116:117], v[142:143]
	v_fma_f64 v[142:143], v[112:113], s[6:7], v[172:173]
	v_fma_f64 v[172:173], v[176:177], -0.5, v[74:75]
	v_fma_f64 v[74:75], v[192:193], -0.5, v[74:75]
	;; [unrolled: 1-line block ×4, first 2 shown]
	v_add_f64 v[176:177], v[178:179], v[184:185]
	v_add_f64 v[68:69], v[68:69], v[180:181]
	;; [unrolled: 1-line block ×4, first 2 shown]
	v_add_f64 v[106:107], v[62:63], -v[66:67]
	v_add_f64 v[62:63], v[66:67], -v[62:63]
	;; [unrolled: 1-line block ×3, first 2 shown]
	v_fma_f64 v[178:179], v[118:119], s[16:17], v[186:187]
	v_fma_f64 v[180:181], v[182:183], s[6:7], v[188:189]
	v_add_f64 v[44:45], v[56:57], v[44:45]
	v_fma_f64 v[56:57], v[118:119], s[6:7], v[76:77]
	v_fma_f64 v[122:123], v[182:183], s[16:17], v[122:123]
	v_add_f64 v[76:77], v[50:51], -v[54:55]
	v_add_f64 v[70:71], v[70:71], v[120:121]
	v_add_f64 v[52:53], v[52:53], -v[48:49]
	v_fma_f64 v[120:121], v[114:115], s[16:17], v[198:199]
	v_add_f64 v[54:55], v[54:55], -v[50:51]
	v_fma_f64 v[66:67], v[116:117], s[8:9], v[142:143]
	v_fma_f64 v[142:143], v[182:183], s[14:15], v[160:161]
	;; [unrolled: 1-line block ×4, first 2 shown]
	v_add_f64 v[48:49], v[104:105], v[48:49]
	v_fma_f64 v[186:187], v[64:65], s[4:5], v[74:75]
	ds_write_b128 v163, v[84:87] offset:112
	v_add_f64 v[46:47], v[58:59], v[46:47]
	v_fma_f64 v[58:59], v[110:111], s[4:5], v[72:73]
	v_add_f64 v[50:51], v[78:79], v[50:51]
	v_fma_f64 v[86:87], v[196:197], s[14:15], v[108:109]
	ds_write_b128 v163, v[80:83] offset:128
	v_fma_f64 v[104:105], v[176:177], s[8:9], v[178:179]
	v_fma_f64 v[178:179], v[68:69], s[8:9], v[180:181]
	;; [unrolled: 1-line block ×4, first 2 shown]
	v_add_f64 v[44:45], v[44:45], v[40:41]
	v_fma_f64 v[56:57], v[176:177], s[8:9], v[56:57]
	v_fma_f64 v[40:41], v[118:119], s[4:5], v[140:141]
	v_add_f64 v[76:77], v[106:107], v[76:77]
	v_fma_f64 v[78:79], v[70:71], s[8:9], v[120:121]
	v_fma_f64 v[68:69], v[68:69], s[8:9], v[122:123]
	v_mul_f64 v[106:107], v[66:67], s[18:19]
	v_mul_f64 v[66:67], v[66:67], s[16:17]
	v_fma_f64 v[120:121], v[64:65], s[16:17], v[182:183]
	v_add_f64 v[74:75], v[174:175], v[184:185]
	v_fma_f64 v[112:113], v[112:113], s[16:17], v[142:143]
	v_fma_f64 v[118:119], v[110:111], s[6:7], v[160:161]
	v_add_f64 v[52:53], v[194:195], v[52:53]
	v_add_f64 v[54:55], v[62:63], v[54:55]
	v_fma_f64 v[142:143], v[60:61], s[16:17], v[186:187]
	v_add_f64 v[46:47], v[46:47], v[42:43]
	ds_write_b128 v163, v[88:91] offset:96
	v_fma_f64 v[58:59], v[196:197], s[16:17], v[58:59]
	v_mul_f64 v[62:63], v[104:105], s[4:5]
	v_mul_f64 v[122:123], v[178:179], s[14:15]
	v_fma_f64 v[140:141], v[196:197], s[6:7], v[180:181]
	v_fma_f64 v[72:73], v[60:61], s[6:7], v[72:73]
	;; [unrolled: 1-line block ×3, first 2 shown]
	v_mul_f64 v[84:85], v[56:57], s[8:9]
	v_fma_f64 v[80:81], v[114:115], s[6:7], v[40:41]
	v_add_f64 v[40:41], v[48:49], v[44:45]
	v_add_f64 v[44:45], v[48:49], -v[44:45]
	v_mul_f64 v[88:89], v[68:69], s[8:9]
	v_fma_f64 v[82:83], v[78:79], s[6:7], v[106:107]
	v_fma_f64 v[66:67], v[78:79], s[18:19], v[66:67]
	v_fma_f64 v[78:79], v[76:77], s[8:9], v[120:121]
	ds_write_b128 v163, v[144:147] offset:144
	v_fma_f64 v[90:91], v[116:117], s[8:9], v[112:113]
	v_fma_f64 v[106:107], v[74:75], s[8:9], v[118:119]
	v_add_f64 v[116:117], v[136:137], v[132:133]
	v_add_f64 v[120:121], v[92:93], v[96:97]
	v_fma_f64 v[112:113], v[54:55], s[8:9], v[142:143]
	v_add_f64 v[42:43], v[50:51], v[46:47]
	v_add_f64 v[46:47], v[50:51], -v[46:47]
	v_fma_f64 v[114:115], v[52:53], s[8:9], v[58:59]
	v_fma_f64 v[62:63], v[178:179], s[8:9], v[62:63]
	;; [unrolled: 1-line block ×5, first 2 shown]
	v_add_f64 v[122:123], v[94:95], v[98:99]
	v_fma_f64 v[84:85], v[68:69], s[14:15], -v[84:85]
	v_fma_f64 v[68:69], v[110:111], s[16:17], v[86:87]
	v_fma_f64 v[86:87], v[64:65], s[6:7], v[60:61]
	;; [unrolled: 1-line block ×3, first 2 shown]
	v_add_f64 v[80:81], v[150:151], v[130:131]
	v_add_f64 v[110:111], v[148:149], v[128:129]
	v_fma_f64 v[88:89], v[56:57], s[4:5], -v[88:89]
	v_add_f64 v[50:51], v[78:79], v[66:67]
	v_add_f64 v[54:55], v[78:79], -v[66:67]
	v_add_f64 v[78:79], v[138:139], v[134:135]
	v_add_f64 v[48:49], v[106:107], v[82:83]
	v_add_f64 v[52:53], v[106:107], -v[82:83]
	v_add_f64 v[82:83], v[150:151], -v[130:131]
	;; [unrolled: 1-line block ×3, first 2 shown]
	v_add_f64 v[142:143], v[154:155], v[158:159]
	v_add_f64 v[144:145], v[148:149], -v[136:137]
	v_add_f64 v[146:147], v[128:129], -v[132:133]
	v_mul_f64 v[118:119], v[90:91], s[18:19]
	v_add_f64 v[58:59], v[112:113], v[104:105]
	v_add_f64 v[56:57], v[108:109], v[62:63]
	v_add_f64 v[60:61], v[108:109], -v[62:63]
	v_add_f64 v[62:63], v[112:113], -v[104:105]
	v_fma_f64 v[104:105], v[116:117], -0.5, v[100:101]
	v_fma_f64 v[106:107], v[74:75], s[8:9], v[68:69]
	v_fma_f64 v[86:87], v[76:77], s[8:9], v[86:87]
	v_add_f64 v[68:69], v[138:139], -v[134:135]
	v_add_f64 v[74:75], v[136:137], -v[132:133]
	v_fma_f64 v[76:77], v[80:81], -0.5, v[102:103]
	v_fma_f64 v[80:81], v[110:111], -0.5, v[100:101]
	v_add_f64 v[116:117], v[152:153], v[156:157]
	v_add_f64 v[100:101], v[100:101], v[148:149]
	v_fma_f64 v[78:79], v[78:79], -0.5, v[102:103]
	v_add_f64 v[148:149], v[136:137], -v[148:149]
	v_add_f64 v[172:173], v[138:139], -v[150:151]
	v_add_f64 v[174:175], v[132:133], -v[128:129]
	v_add_f64 v[176:177], v[134:135], -v[130:131]
	v_add_f64 v[182:183], v[96:97], v[124:125]
	v_add_f64 v[184:185], v[98:99], v[126:127]
	;; [unrolled: 1-line block ×3, first 2 shown]
	v_add_f64 v[190:191], v[150:151], -v[138:139]
	v_add_f64 v[192:193], v[130:131], -v[134:135]
	v_add_f64 v[102:103], v[102:103], v[150:151]
	v_add_f64 v[110:111], v[120:121], v[152:153]
	v_add_f64 v[120:121], v[96:97], -v[152:153]
	v_fma_f64 v[160:161], v[82:83], s[4:5], v[104:105]
	v_fma_f64 v[104:105], v[82:83], s[14:15], v[104:105]
	v_add_f64 v[122:123], v[152:153], -v[96:97]
	v_add_f64 v[188:189], v[98:99], -v[126:127]
	;; [unrolled: 1-line block ×3, first 2 shown]
	v_fma_f64 v[178:179], v[74:75], s[4:5], v[76:77]
	v_fma_f64 v[180:181], v[68:69], s[14:15], v[80:81]
	;; [unrolled: 1-line block ×5, first 2 shown]
	v_add_f64 v[144:145], v[144:145], v[146:147]
	v_fma_f64 v[78:79], v[140:141], s[14:15], v[78:79]
	v_add_f64 v[100:101], v[100:101], v[136:137]
	v_fma_f64 v[116:117], v[116:117], -0.5, v[92:93]
	v_fma_f64 v[136:137], v[142:143], -0.5, v[94:95]
	v_fma_f64 v[108:109], v[70:71], s[6:7], -v[118:119]
	v_add_f64 v[118:119], v[154:155], -v[158:159]
	v_add_f64 v[152:153], v[152:153], -v[156:157]
	v_add_f64 v[142:143], v[148:149], v[174:175]
	v_add_f64 v[148:149], v[172:173], v[176:177]
	v_fma_f64 v[92:93], v[182:183], -0.5, v[92:93]
	v_fma_f64 v[94:95], v[184:185], -0.5, v[94:95]
	v_fma_f64 v[146:147], v[68:69], s[6:7], v[160:161]
	v_fma_f64 v[68:69], v[68:69], s[16:17], v[104:105]
	v_add_f64 v[102:103], v[102:103], v[138:139]
	v_add_f64 v[186:187], v[98:99], -v[154:155]
	v_add_f64 v[98:99], v[154:155], -v[98:99]
	v_fma_f64 v[150:151], v[140:141], s[16:17], v[178:179]
	v_fma_f64 v[160:161], v[82:83], s[6:7], v[180:181]
	;; [unrolled: 1-line block ×4, first 2 shown]
	v_add_f64 v[82:83], v[112:113], v[158:159]
	v_add_f64 v[112:113], v[190:191], v[192:193]
	v_fma_f64 v[104:105], v[74:75], s[6:7], v[194:195]
	v_add_f64 v[110:111], v[110:111], v[156:157]
	v_add_f64 v[138:139], v[124:125], -v[156:157]
	v_add_f64 v[140:141], v[126:127], -v[158:159]
	v_fma_f64 v[74:75], v[74:75], s[16:17], v[78:79]
	v_fma_f64 v[154:155], v[188:189], s[4:5], v[116:117]
	v_add_f64 v[158:159], v[158:159], -v[126:127]
	v_add_f64 v[100:101], v[100:101], v[132:133]
	v_fma_f64 v[116:117], v[188:189], s[14:15], v[116:117]
	v_mul_f64 v[70:71], v[70:71], s[18:19]
	v_fma_f64 v[172:173], v[152:153], s[4:5], v[94:95]
	v_fma_f64 v[78:79], v[144:145], s[8:9], v[146:147]
	v_add_f64 v[146:147], v[156:157], -v[124:125]
	v_fma_f64 v[156:157], v[96:97], s[14:15], v[136:137]
	v_fma_f64 v[94:95], v[152:153], s[14:15], v[94:95]
	v_fma_f64 v[136:137], v[96:97], s[4:5], v[136:137]
	v_fma_f64 v[132:133], v[148:149], s[8:9], v[150:151]
	v_fma_f64 v[150:151], v[142:143], s[8:9], v[160:161]
	v_fma_f64 v[160:161], v[118:119], s[14:15], v[92:93]
	v_fma_f64 v[92:93], v[118:119], s[4:5], v[92:93]
	v_fma_f64 v[80:81], v[142:143], s[8:9], v[80:81]
	v_fma_f64 v[76:77], v[148:149], s[8:9], v[76:77]
	v_fma_f64 v[68:69], v[144:145], s[8:9], v[68:69]
	v_fma_f64 v[104:105], v[112:113], s[8:9], v[104:105]
	v_add_f64 v[102:103], v[102:103], v[134:135]
	v_add_f64 v[120:121], v[120:121], v[138:139]
	;; [unrolled: 1-line block ×3, first 2 shown]
	v_fma_f64 v[74:75], v[112:113], s[8:9], v[74:75]
	v_fma_f64 v[138:139], v[118:119], s[6:7], v[154:155]
	v_add_f64 v[98:99], v[98:99], v[158:159]
	v_fma_f64 v[116:117], v[118:119], s[16:17], v[116:117]
	v_fma_f64 v[90:91], v[90:91], s[16:17], -v[70:71]
	v_fma_f64 v[148:149], v[96:97], s[16:17], v[172:173]
	v_mul_f64 v[112:113], v[78:79], s[18:19]
	v_mul_f64 v[78:79], v[78:79], s[16:17]
	v_fma_f64 v[140:141], v[152:153], s[16:17], v[156:157]
	v_add_f64 v[122:123], v[122:123], v[146:147]
	v_fma_f64 v[94:95], v[96:97], s[6:7], v[94:95]
	v_mul_f64 v[142:143], v[132:133], s[4:5]
	v_mul_f64 v[144:145], v[150:151], s[14:15]
	v_fma_f64 v[146:147], v[188:189], s[6:7], v[160:161]
	v_fma_f64 v[92:93], v[188:189], s[16:17], v[92:93]
	v_mul_f64 v[96:97], v[80:81], s[8:9]
	v_mul_f64 v[154:155], v[76:77], s[8:9]
	v_fma_f64 v[118:119], v[152:153], s[6:7], v[136:137]
	v_mul_f64 v[136:137], v[68:69], s[18:19]
	v_mul_f64 v[152:153], v[104:105], s[18:19]
	v_add_f64 v[110:111], v[110:111], v[124:125]
	v_add_f64 v[82:83], v[82:83], v[126:127]
	v_add_f64 v[100:101], v[100:101], v[128:129]
	v_add_f64 v[102:103], v[102:103], v[130:131]
	v_fma_f64 v[126:127], v[120:121], s[8:9], v[138:139]
	v_fma_f64 v[116:117], v[120:121], s[8:9], v[116:117]
	v_mul_i32_i24_e32 v156, 10, v166
	v_add_f64 v[64:65], v[114:115], v[88:89]
	v_fma_f64 v[112:113], v[74:75], s[6:7], v[112:113]
	v_fma_f64 v[124:125], v[74:75], s[18:19], v[78:79]
	;; [unrolled: 1-line block ×4, first 2 shown]
	v_add_f64 v[66:67], v[72:73], v[84:85]
	v_fma_f64 v[130:131], v[150:151], s[8:9], v[142:143]
	v_fma_f64 v[132:133], v[132:133], s[8:9], v[144:145]
	;; [unrolled: 1-line block ×5, first 2 shown]
	v_fma_f64 v[144:145], v[76:77], s[4:5], -v[96:97]
	v_fma_f64 v[146:147], v[80:81], s[14:15], -v[154:155]
	v_fma_f64 v[118:119], v[134:135], s[8:9], v[118:119]
	v_fma_f64 v[120:121], v[104:105], s[6:7], -v[136:137]
	v_fma_f64 v[134:135], v[68:69], s[16:17], -v[152:153]
	v_lshl_add_u32 v136, v156, 4, 0
	v_add_f64 v[70:71], v[72:73], -v[84:85]
	v_add_f64 v[72:73], v[106:107], v[108:109]
	v_add_f64 v[74:75], v[86:87], v[90:91]
	v_add_f64 v[68:69], v[114:115], -v[88:89]
	v_add_f64 v[76:77], v[106:107], -v[108:109]
	;; [unrolled: 1-line block ×3, first 2 shown]
	ds_write_b128 v136, v[40:43]
	v_add_f64 v[40:41], v[110:111], v[100:101]
	v_add_f64 v[42:43], v[82:83], v[102:103]
	;; [unrolled: 1-line block ×4, first 2 shown]
	v_add_f64 v[80:81], v[110:111], -v[100:101]
	v_add_f64 v[94:95], v[140:141], v[132:133]
	v_add_f64 v[92:93], v[138:139], v[130:131]
	v_add_f64 v[82:83], v[82:83], -v[102:103]
	v_add_f64 v[88:89], v[126:127], -v[112:113]
	v_add_f64 v[96:97], v[122:123], v[144:145]
	v_add_f64 v[98:99], v[142:143], v[146:147]
	v_add_f64 v[90:91], v[128:129], -v[124:125]
	v_add_f64 v[100:101], v[116:117], v[120:121]
	v_add_f64 v[102:103], v[118:119], v[134:135]
	v_add_f64 v[104:105], v[138:139], -v[130:131]
	v_add_f64 v[106:107], v[140:141], -v[132:133]
	;; [unrolled: 1-line block ×6, first 2 shown]
	ds_write_b128 v136, v[48:51] offset:16
	v_mul_i32_i24_e32 v48, 10, v171
	ds_write_b128 v136, v[56:59] offset:32
	ds_write_b128 v136, v[64:67] offset:48
	;; [unrolled: 1-line block ×4, first 2 shown]
	v_lshl_add_u32 v44, v48, 4, 0
	ds_write_b128 v136, v[52:55] offset:96
	ds_write_b128 v136, v[60:63] offset:112
	ds_write_b128 v136, v[68:71] offset:128
	ds_write_b128 v136, v[76:79] offset:144
	ds_write_b128 v44, v[40:43]
	ds_write_b128 v44, v[84:87] offset:16
	ds_write_b128 v44, v[92:95] offset:32
	;; [unrolled: 1-line block ×9, first 2 shown]
	v_cmpx_gt_u32_e32 36, v162
	s_cbranch_execz .LBB0_15
; %bb.14:
	v_add_f64 v[40:41], v[34:35], v[26:27]
	v_add_f64 v[42:43], v[38:39], v[18:19]
	;; [unrolled: 1-line block ×4, first 2 shown]
	v_add_f64 v[48:49], v[38:39], -v[18:19]
	v_add_f64 v[50:51], v[34:35], -v[26:27]
	v_add_f64 v[52:53], v[32:33], -v[24:25]
	v_add_f64 v[54:55], v[36:37], -v[16:17]
	v_add_f64 v[64:65], v[30:31], v[22:23]
	v_add_f64 v[66:67], v[36:37], -v[32:33]
	v_add_f64 v[68:69], v[16:17], -v[24:25]
	v_add_f64 v[70:71], v[38:39], -v[34:35]
	v_add_f64 v[72:73], v[18:19], -v[26:27]
	v_add_f64 v[78:79], v[6:7], v[14:15]
	;; [unrolled: 5-line block ×3, first 2 shown]
	v_add_f64 v[98:99], v[4:5], v[12:13]
	v_add_f64 v[88:89], v[2:3], v[6:7]
	;; [unrolled: 1-line block ×3, first 2 shown]
	v_fma_f64 v[40:41], v[40:41], -0.5, v[10:11]
	v_fma_f64 v[42:43], v[42:43], -0.5, v[10:11]
	;; [unrolled: 1-line block ×4, first 2 shown]
	v_add_f64 v[10:11], v[10:11], v[38:39]
	v_add_f64 v[8:9], v[8:9], v[36:37]
	v_add_f64 v[56:57], v[6:7], -v[30:31]
	v_add_f64 v[60:61], v[28:29], -v[20:21]
	;; [unrolled: 1-line block ×7, first 2 shown]
	v_fma_f64 v[36:37], v[64:65], -0.5, v[2:3]
	v_add_f64 v[64:65], v[66:67], v[68:69]
	v_add_f64 v[66:67], v[70:71], v[72:73]
	v_fma_f64 v[2:3], v[78:79], -0.5, v[2:3]
	v_add_f64 v[68:69], v[80:81], v[82:83]
	v_add_f64 v[70:71], v[84:85], v[86:87]
	v_fma_f64 v[82:83], v[96:97], -0.5, v[0:1]
	v_fma_f64 v[0:1], v[98:99], -0.5, v[0:1]
	v_add_f64 v[58:59], v[14:15], -v[22:23]
	v_fma_f64 v[38:39], v[54:55], s[4:5], v[40:41]
	v_fma_f64 v[90:91], v[52:53], s[14:15], v[42:43]
	;; [unrolled: 1-line block ×8, first 2 shown]
	v_add_f64 v[100:101], v[4:5], -v[28:29]
	v_add_f64 v[4:5], v[28:29], -v[4:5]
	v_add_f64 v[30:31], v[88:89], v[30:31]
	v_add_f64 v[10:11], v[10:11], v[34:35]
	;; [unrolled: 1-line block ×4, first 2 shown]
	v_add_f64 v[102:103], v[12:13], -v[20:21]
	v_fma_f64 v[32:33], v[62:63], s[4:5], v[36:37]
	v_fma_f64 v[34:35], v[60:61], s[14:15], v[2:3]
	;; [unrolled: 1-line block ×4, first 2 shown]
	v_add_f64 v[84:85], v[20:21], -v[12:13]
	v_add_f64 v[56:57], v[56:57], v[58:59]
	v_fma_f64 v[38:39], v[52:53], s[6:7], v[38:39]
	v_fma_f64 v[72:73], v[54:55], s[6:7], v[90:91]
	;; [unrolled: 1-line block ×7, first 2 shown]
	v_add_f64 v[48:49], v[74:75], v[76:77]
	v_fma_f64 v[40:41], v[52:53], s[16:17], v[40:41]
	v_fma_f64 v[74:75], v[6:7], s[4:5], v[82:83]
	;; [unrolled: 1-line block ×3, first 2 shown]
	v_add_f64 v[22:23], v[30:31], v[22:23]
	v_add_f64 v[10:11], v[10:11], v[26:27]
	v_add_f64 v[20:21], v[28:29], v[20:21]
	v_add_f64 v[8:9], v[8:9], v[24:25]
	v_add_f64 v[76:77], v[100:101], v[102:103]
	v_fma_f64 v[24:25], v[60:61], s[6:7], v[32:33]
	v_fma_f64 v[26:27], v[62:63], s[6:7], v[34:35]
	;; [unrolled: 1-line block ×4, first 2 shown]
	v_add_f64 v[4:5], v[4:5], v[84:85]
	v_fma_f64 v[38:39], v[66:67], s[8:9], v[38:39]
	v_fma_f64 v[50:51], v[70:71], s[8:9], v[72:73]
	;; [unrolled: 1-line block ×11, first 2 shown]
	v_add_f64 v[14:15], v[22:23], v[14:15]
	v_add_f64 v[10:11], v[10:11], v[18:19]
	;; [unrolled: 1-line block ×4, first 2 shown]
	v_fma_f64 v[16:17], v[56:57], s[8:9], v[24:25]
	v_fma_f64 v[20:21], v[48:49], s[8:9], v[26:27]
	;; [unrolled: 1-line block ×4, first 2 shown]
	v_mul_f64 v[32:33], v[38:39], s[18:19]
	v_mul_f64 v[34:35], v[50:51], s[8:9]
	;; [unrolled: 1-line block ×4, first 2 shown]
	v_fma_f64 v[60:61], v[6:7], s[16:17], v[72:73]
	v_fma_f64 v[0:1], v[6:7], s[6:7], v[0:1]
	;; [unrolled: 1-line block ×3, first 2 shown]
	v_mul_f64 v[54:55], v[54:55], s[18:19]
	v_mul_f64 v[62:63], v[42:43], s[4:5]
	;; [unrolled: 1-line block ×4, first 2 shown]
	v_add_f64 v[2:3], v[14:15], -v[10:11]
	v_fma_f64 v[26:27], v[46:47], s[16:17], -v[32:33]
	v_fma_f64 v[32:33], v[44:45], s[14:15], -v[34:35]
	v_fma_f64 v[34:35], v[42:43], s[8:9], v[36:37]
	v_fma_f64 v[36:37], v[30:31], s[18:19], v[40:41]
	;; [unrolled: 1-line block ×7, first 2 shown]
	v_fma_f64 v[50:51], v[50:51], s[4:5], -v[64:65]
	v_fma_f64 v[40:41], v[76:77], s[8:9], v[58:59]
	v_fma_f64 v[54:55], v[38:39], s[6:7], -v[66:67]
	v_add_f64 v[6:7], v[14:15], v[10:11]
	v_add_f64 v[4:5], v[12:13], v[8:9]
	v_add_f64 v[0:1], v[12:13], -v[8:9]
	v_add_f64 v[10:11], v[16:17], -v[26:27]
	;; [unrolled: 1-line block ×5, first 2 shown]
	v_add_f64 v[38:39], v[28:29], v[36:37]
	v_add_f64 v[30:31], v[20:21], v[32:33]
	;; [unrolled: 1-line block ×8, first 2 shown]
	v_add_f64 v[20:21], v[46:47], -v[48:49]
	v_add_f64 v[16:17], v[44:45], -v[52:53]
	;; [unrolled: 1-line block ×4, first 2 shown]
	v_mul_i32_i24_e32 v40, 10, v170
	v_lshl_add_u32 v40, v40, 4, 0
	ds_write_b128 v40, v[4:7]
	ds_write_b128 v40, v[0:3] offset:80
	ds_write_b128 v40, v[36:39] offset:16
	;; [unrolled: 1-line block ×9, first 2 shown]
.LBB0_15:
	s_or_b32 exec_lo, exec_lo, s1
	v_and_b32_e32 v0, 0xff, v162
	v_mov_b32_e32 v20, 5
	s_waitcnt lgkmcnt(0)
	s_barrier
	buffer_gl0_inv
	v_mul_lo_u16 v0, 0xcd, v0
	v_and_b32_e32 v163, 0xff, v171
	v_and_b32_e32 v167, 0xff, v170
	v_add_nc_u32_e32 v174, 0xf0, v162
	v_mov_b32_e32 v21, 0xcccd
	v_lshrrev_b16 v172, 11, v0
	v_mul_lo_u16 v2, 0xcd, v163
	v_add_nc_u32_e32 v173, 0x12c, v162
	v_mov_b32_e32 v212, v171
	v_mul_u32_u24_sdwa v9, v174, v21 dst_sel:DWORD dst_unused:UNUSED_PAD src0_sel:WORD_0 src1_sel:DWORD
	v_mul_lo_u16 v0, v172, 10
	v_lshrrev_b16 v216, 11, v2
	v_mul_u32_u24_sdwa v21, v173, v21 dst_sel:DWORD dst_unused:UNUSED_PAD src0_sel:WORD_0 src1_sel:DWORD
	s_mov_b32 s6, 0xe8584caa
	v_lshrrev_b32_e32 v219, 19, v9
	v_sub_nc_u16 v213, v162, v0
	v_and_b32_e32 v0, 0xff, v166
	v_lshrrev_b32_e32 v221, 19, v21
	s_mov_b32 s7, 0x3febb67a
	v_mul_lo_u16 v23, v219, 10
	v_mul_u32_u24_sdwa v1, v213, v20 dst_sel:DWORD dst_unused:UNUSED_PAD src0_sel:BYTE_0 src1_sel:DWORD
	v_mul_lo_u16 v0, 0xcd, v0
	s_mov_b32 s5, 0xbfebb67a
	s_mov_b32 s4, s6
	v_sub_nc_u16 v223, v174, v23
	v_lshlrev_b32_e32 v1, 4, v1
	v_lshrrev_b16 v214, 11, v0
	v_mul_lo_u16 v23, v221, 10
	s_add_u32 s1, s12, 0x8660
	v_mul_u32_u24_sdwa v21, v223, v20 dst_sel:DWORD dst_unused:UNUSED_PAD src0_sel:WORD_0 src1_sel:DWORD
	s_clause 0x4
	global_load_dwordx4 v[96:99], v1, s[12:13]
	global_load_dwordx4 v[124:127], v1, s[12:13] offset:16
	global_load_dwordx4 v[120:123], v1, s[12:13] offset:32
	;; [unrolled: 1-line block ×4, first 2 shown]
	v_mul_lo_u16 v0, v214, 10
	v_sub_nc_u16 v222, v173, v23
	v_lshlrev_b32_e32 v32, 4, v21
	v_sub_nc_u16 v215, v166, v0
	v_mul_u32_u24_sdwa v33, v222, v20 dst_sel:DWORD dst_unused:UNUSED_PAD src0_sel:WORD_0 src1_sel:DWORD
	v_mul_u32_u24_sdwa v0, v215, v20 dst_sel:DWORD dst_unused:UNUSED_PAD src0_sel:BYTE_0 src1_sel:DWORD
	v_lshlrev_b32_e32 v72, 4, v33
	v_lshlrev_b32_e32 v0, 4, v0
	s_clause 0x4
	global_load_dwordx4 v[144:147], v0, s[12:13]
	global_load_dwordx4 v[140:143], v0, s[12:13] offset:16
	global_load_dwordx4 v[128:131], v0, s[12:13] offset:32
	;; [unrolled: 1-line block ×4, first 2 shown]
	v_mul_lo_u16 v1, v216, 10
	v_mul_lo_u16 v0, 0xcd, v167
	v_sub_nc_u16 v217, v171, v1
	v_lshrrev_b16 v218, 11, v0
	v_lshl_add_u32 v171, v166, 4, 0
	v_mul_u32_u24_sdwa v1, v217, v20 dst_sel:DWORD dst_unused:UNUSED_PAD src0_sel:BYTE_0 src1_sel:DWORD
	v_mul_lo_u16 v4, v218, 10
	v_lshlrev_b32_e32 v8, 4, v1
	v_sub_nc_u16 v220, v170, v4
	s_clause 0x1
	global_load_dwordx4 v[152:155], v8, s[12:13]
	global_load_dwordx4 v[0:3], v8, s[12:13] offset:16
	v_mul_u32_u24_sdwa v10, v220, v20 dst_sel:DWORD dst_unused:UNUSED_PAD src0_sel:BYTE_0 src1_sel:DWORD
	s_clause 0x1
	global_load_dwordx4 v[12:15], v8, s[12:13] offset:32
	global_load_dwordx4 v[4:7], v8, s[12:13] offset:48
	v_lshlrev_b32_e32 v22, 4, v10
	s_clause 0xf
	global_load_dwordx4 v[8:11], v8, s[12:13] offset:64
	global_load_dwordx4 v[16:19], v22, s[12:13]
	global_load_dwordx4 v[52:55], v22, s[12:13] offset:16
	global_load_dwordx4 v[48:51], v22, s[12:13] offset:32
	global_load_dwordx4 v[44:47], v22, s[12:13] offset:48
	global_load_dwordx4 v[40:43], v22, s[12:13] offset:64
	global_load_dwordx4 v[36:39], v32, s[12:13]
	global_load_dwordx4 v[24:27], v32, s[12:13] offset:16
	global_load_dwordx4 v[28:31], v32, s[12:13] offset:32
	global_load_dwordx4 v[20:23], v32, s[12:13] offset:48
	global_load_dwordx4 v[32:35], v32, s[12:13] offset:64
	global_load_dwordx4 v[68:71], v72, s[12:13]
	global_load_dwordx4 v[64:67], v72, s[12:13] offset:16
	global_load_dwordx4 v[60:63], v72, s[12:13] offset:32
	global_load_dwordx4 v[56:59], v72, s[12:13] offset:48
	global_load_dwordx4 v[72:75], v72, s[12:13] offset:64
	ds_read_b128 v[116:119], v209 offset:5760
	ds_read_b128 v[179:182], v209 offset:11520
	;; [unrolled: 1-line block ×20, first 2 shown]
	s_waitcnt vmcnt(29) lgkmcnt(19)
	v_mul_f64 v[156:157], v[118:119], v[98:99]
	s_waitcnt vmcnt(28) lgkmcnt(18)
	v_mul_f64 v[187:188], v[181:182], v[126:127]
	v_mul_f64 v[126:127], v[179:180], v[126:127]
	s_waitcnt vmcnt(26) lgkmcnt(16)
	v_mul_f64 v[207:208], v[197:198], v[134:135]
	v_mul_f64 v[191:192], v[185:186], v[122:123]
	;; [unrolled: 1-line block ×5, first 2 shown]
	s_waitcnt vmcnt(25) lgkmcnt(15)
	v_mul_f64 v[210:211], v[201:202], v[138:139]
	v_mul_f64 v[138:139], v[199:200], v[138:139]
	v_fma_f64 v[177:178], v[116:117], v[96:97], -v[156:157]
	v_fma_f64 v[187:188], v[179:180], v[124:125], -v[187:188]
	v_fma_f64 v[189:190], v[181:182], v[124:125], v[126:127]
	s_waitcnt vmcnt(24) lgkmcnt(14)
	v_mul_f64 v[156:157], v[205:206], v[146:147]
	v_mul_f64 v[146:147], v[203:204], v[146:147]
	v_fma_f64 v[179:180], v[195:196], v[132:133], -v[207:208]
	s_waitcnt vmcnt(21) lgkmcnt(11)
	v_mul_f64 v[207:208], v[234:235], v[160:161]
	v_mul_f64 v[248:249], v[232:233], v[160:161]
	;; [unrolled: 1-line block ×6, first 2 shown]
	v_fma_f64 v[193:194], v[183:184], v[120:121], -v[191:192]
	v_fma_f64 v[191:192], v[185:186], v[120:121], v[122:123]
	s_waitcnt vmcnt(20) lgkmcnt(10)
	v_mul_f64 v[250:251], v[238:239], v[150:151]
	v_mul_f64 v[252:253], v[236:237], v[150:151]
	v_fma_f64 v[175:176], v[118:119], v[96:97], v[98:99]
	ds_read_b128 v[96:99], v209 offset:9600
	ds_read_b128 v[116:119], v209 offset:10560
	;; [unrolled: 1-line block ×4, first 2 shown]
	v_fma_f64 v[181:182], v[197:198], v[132:133], v[134:135]
	v_fma_f64 v[183:184], v[199:200], v[136:137], -v[210:211]
	v_fma_f64 v[160:161], v[201:202], v[136:137], v[138:139]
	ds_read_b128 v[136:139], v209 offset:21120
	ds_read_b128 v[132:135], v209 offset:22080
	v_fma_f64 v[185:186], v[203:204], v[144:145], -v[156:157]
	v_fma_f64 v[150:151], v[205:206], v[144:145], v[146:147]
	s_waitcnt vmcnt(19) lgkmcnt(15)
	v_mul_f64 v[254:255], v[242:243], v[154:155]
	s_waitcnt vmcnt(18) lgkmcnt(13)
	v_mul_f64 v[203:204], v[102:103], v[2:3]
	v_mul_f64 v[205:206], v[100:101], v[2:3]
	v_fma_f64 v[2:3], v[232:233], v[158:159], -v[207:208]
	v_fma_f64 v[158:159], v[234:235], v[158:159], v[248:249]
	v_lshl_add_u32 v249, v212, 4, 0
	v_mov_b32_e32 v248, v212
	v_mul_f64 v[210:211], v[240:241], v[154:155]
	v_fma_f64 v[195:196], v[224:225], v[140:141], -v[244:245]
	v_fma_f64 v[197:198], v[226:227], v[140:141], v[142:143]
	ds_read_b128 v[144:147], v209 offset:26880
	ds_read_b128 v[140:143], v209 offset:27840
	v_fma_f64 v[201:202], v[228:229], v[128:129], -v[246:247]
	v_fma_f64 v[199:200], v[230:231], v[128:129], v[130:131]
	ds_read_b128 v[154:157], v209 offset:33600
	ds_read_b128 v[128:131], v209
	buffer_store_dword v248, off, s[28:31], 0 ; 4-byte Folded Spill
	buffer_store_dword v249, off, s[28:31], 0 offset:4 ; 4-byte Folded Spill
	s_waitcnt vmcnt(17) lgkmcnt(15)
	v_mul_f64 v[232:233], v[106:107], v[14:15]
	v_mul_f64 v[234:235], v[104:105], v[14:15]
	s_waitcnt vmcnt(16) lgkmcnt(13)
	v_mul_f64 v[244:245], v[110:111], v[6:7]
	v_fma_f64 v[207:208], v[236:237], v[148:149], -v[250:251]
	v_mul_f64 v[236:237], v[108:109], v[6:7]
	ds_read_b128 v[224:227], v209 offset:3840
	ds_read_b128 v[228:231], v209 offset:4800
	v_fma_f64 v[148:149], v[238:239], v[148:149], v[252:253]
	v_fma_f64 v[14:15], v[240:241], v[152:153], -v[254:255]
	v_fma_f64 v[203:204], v[100:101], v[0:1], -v[203:204]
	v_fma_f64 v[0:1], v[102:103], v[0:1], v[205:206]
	s_waitcnt vmcnt(13)
	v_mul_f64 v[205:206], v[82:83], v[54:55]
	v_mul_f64 v[54:55], v[80:81], v[54:55]
	;; [unrolled: 1-line block ×4, first 2 shown]
	v_fma_f64 v[6:7], v[242:243], v[152:153], v[210:211]
	s_waitcnt lgkmcnt(13)
	v_mul_f64 v[152:153], v[114:115], v[10:11]
	v_mul_f64 v[210:211], v[112:113], v[10:11]
	v_lshl_add_u32 v212, v170, 4, 0
	v_fma_f64 v[104:105], v[104:105], v[12:13], -v[232:233]
	v_fma_f64 v[106:107], v[106:107], v[12:13], v[234:235]
	s_waitcnt vmcnt(12)
	v_mul_f64 v[232:233], v[86:87], v[50:51]
	v_fma_f64 v[108:109], v[108:109], v[4:5], -v[244:245]
	v_fma_f64 v[4:5], v[110:111], v[4:5], v[236:237]
	v_mul_f64 v[50:51], v[84:85], v[50:51]
	s_waitcnt vmcnt(11)
	v_mul_f64 v[110:111], v[90:91], v[46:47]
	v_mul_f64 v[46:47], v[88:89], v[46:47]
	s_waitcnt vmcnt(10) lgkmcnt(12)
	v_mul_f64 v[234:235], v[94:95], v[42:43]
	v_mul_f64 v[42:43], v[92:93], v[42:43]
	ds_read_b128 v[10:13], v209 offset:32640
	ds_read_b128 v[100:103], v171
	s_waitcnt vmcnt(6) lgkmcnt(7)
	v_mul_f64 v[236:237], v[146:147], v[22:23]
	v_mul_f64 v[22:23], v[144:145], v[22:23]
	v_fma_f64 v[80:81], v[80:81], v[52:53], -v[205:206]
	v_fma_f64 v[52:53], v[82:83], v[52:53], v[54:55]
	v_fma_f64 v[112:113], v[112:113], v[8:9], -v[152:153]
	v_fma_f64 v[8:9], v[114:115], v[8:9], v[210:211]
	v_mul_f64 v[152:153], v[126:127], v[26:27]
	v_mul_f64 v[26:27], v[124:125], v[26:27]
	;; [unrolled: 1-line block ×4, first 2 shown]
	s_waitcnt vmcnt(4)
	v_mul_f64 v[205:206], v[118:119], v[70:71]
	v_mul_f64 v[114:115], v[98:99], v[38:39]
	;; [unrolled: 1-line block ×3, first 2 shown]
	v_fma_f64 v[84:85], v[84:85], v[48:49], -v[232:233]
	v_fma_f64 v[78:79], v[78:79], v[16:17], v[18:19]
	v_fma_f64 v[76:77], v[76:77], v[16:17], -v[238:239]
	v_fma_f64 v[48:49], v[86:87], v[48:49], v[50:51]
	v_mul_f64 v[50:51], v[116:117], v[70:71]
	s_waitcnt lgkmcnt(1)
	v_mul_f64 v[54:55], v[12:13], v[34:35]
	v_mul_f64 v[82:83], v[10:11], v[34:35]
	s_waitcnt vmcnt(3)
	v_mul_f64 v[70:71], v[122:123], v[66:67]
	v_mul_f64 v[66:67], v[120:121], v[66:67]
	s_waitcnt vmcnt(2)
	v_mul_f64 v[86:87], v[134:135], v[62:63]
	v_fma_f64 v[88:89], v[88:89], v[44:45], -v[110:111]
	v_fma_f64 v[44:45], v[90:91], v[44:45], v[46:47]
	v_mul_f64 v[46:47], v[132:133], v[62:63]
	s_waitcnt vmcnt(1)
	v_mul_f64 v[62:63], v[142:143], v[58:59]
	v_mul_f64 v[58:59], v[140:141], v[58:59]
	s_waitcnt vmcnt(0)
	v_mul_f64 v[90:91], v[156:157], v[74:75]
	v_fma_f64 v[92:93], v[92:93], v[40:41], -v[234:235]
	v_fma_f64 v[40:41], v[94:95], v[40:41], v[42:43]
	v_mul_f64 v[42:43], v[154:155], v[74:75]
	v_fma_f64 v[94:95], v[124:125], v[24:25], -v[152:153]
	v_fma_f64 v[24:25], v[126:127], v[24:25], v[26:27]
	v_fma_f64 v[26:27], v[136:137], v[28:29], -v[210:211]
	v_fma_f64 v[28:29], v[138:139], v[28:29], v[30:31]
	;; [unrolled: 2-line block ×3, first 2 shown]
	v_fma_f64 v[22:23], v[116:117], v[68:69], -v[205:206]
	v_fma_f64 v[74:75], v[96:97], v[36:37], -v[114:115]
	;; [unrolled: 1-line block ×3, first 2 shown]
	v_fma_f64 v[12:13], v[12:13], v[32:33], v[82:83]
	v_fma_f64 v[32:33], v[118:119], v[68:69], v[50:51]
	v_fma_f64 v[50:51], v[120:121], v[64:65], -v[70:71]
	v_fma_f64 v[54:55], v[122:123], v[64:65], v[66:67]
	v_fma_f64 v[64:65], v[132:133], v[60:61], -v[86:87]
	v_add_f64 v[68:69], v[195:196], v[2:3]
	v_fma_f64 v[46:47], v[134:135], v[60:61], v[46:47]
	v_fma_f64 v[60:61], v[140:141], v[56:57], -v[62:63]
	v_fma_f64 v[56:57], v[142:143], v[56:57], v[58:59]
	v_fma_f64 v[58:59], v[154:155], v[72:73], -v[90:91]
	v_fma_f64 v[38:39], v[98:99], v[36:37], v[38:39]
	v_add_f64 v[62:63], v[187:188], v[179:180]
	v_fma_f64 v[42:43], v[156:157], v[72:73], v[42:43]
	v_add_f64 v[72:73], v[203:204], v[108:109]
	v_add_f64 v[66:67], v[189:190], v[181:182]
	;; [unrolled: 1-line block ×9, first 2 shown]
	v_add_f64 v[144:145], v[187:188], -v[179:180]
	v_add_f64 v[146:147], v[189:190], -v[181:182]
	v_add_f64 v[152:153], v[177:178], v[193:194]
	v_add_f64 v[154:155], v[193:194], v[183:184]
	;; [unrolled: 1-line block ×4, first 2 shown]
	s_waitcnt lgkmcnt(0)
	v_add_f64 v[98:99], v[100:101], v[195:196]
	v_add_f64 v[110:111], v[102:103], v[197:198]
	;; [unrolled: 1-line block ×10, first 2 shown]
	v_fma_f64 v[68:69], v[68:69], -0.5, v[100:101]
	v_add_f64 v[100:101], v[26:27], v[10:11]
	v_add_f64 v[240:241], v[106:107], v[8:9]
	v_add_f64 v[132:133], v[224:225], v[94:95]
	v_add_f64 v[134:135], v[226:227], v[24:25]
	v_add_f64 v[136:137], v[50:51], v[60:61]
	v_add_f64 v[140:141], v[228:229], v[50:51]
	v_add_f64 v[142:143], v[230:231], v[54:55]
	v_add_f64 v[242:243], v[76:77], v[84:85]
	v_fma_f64 v[62:63], v[62:63], -0.5, v[128:129]
	v_fma_f64 v[66:67], v[66:67], -0.5, v[130:131]
	v_add_f64 v[128:129], v[48:49], v[40:41]
	v_add_f64 v[130:131], v[24:25], -v[20:21]
	v_add_f64 v[24:25], v[74:75], v[26:27]
	v_add_f64 v[250:251], v[50:51], -v[60:61]
	v_add_f64 v[156:157], v[193:194], -v[183:184]
	;; [unrolled: 1-line block ×3, first 2 shown]
	v_fma_f64 v[70:71], v[70:71], -0.5, v[102:103]
	v_add_f64 v[102:103], v[26:27], -v[10:11]
	v_add_f64 v[26:27], v[38:39], v[28:29]
	v_add_f64 v[193:194], v[195:196], -v[2:3]
	v_add_f64 v[195:196], v[197:198], -v[158:159]
	v_add_f64 v[197:198], v[185:186], v[201:202]
	v_add_f64 v[201:202], v[201:202], -v[207:208]
	v_add_f64 v[199:200], v[199:200], -v[148:149]
	v_add_f64 v[2:3], v[98:99], v[2:3]
	v_add_f64 v[98:99], v[110:111], v[158:159]
	v_fma_f64 v[158:159], v[205:206], -0.5, v[185:186]
	v_fma_f64 v[150:151], v[232:233], -0.5, v[150:151]
	v_add_f64 v[234:235], v[14:15], v[104:105]
	v_add_f64 v[138:139], v[54:55], v[56:57]
	v_add_f64 v[106:107], v[106:107], -v[8:9]
	v_add_f64 v[48:49], v[48:49], -v[40:41]
	v_add_f64 v[148:149], v[210:211], v[148:149]
	v_fma_f64 v[14:15], v[236:237], -0.5, v[14:15]
	v_add_f64 v[8:9], v[238:239], v[8:9]
	v_fma_f64 v[74:75], v[100:101], -0.5, v[74:75]
	v_add_f64 v[104:105], v[104:105], -v[112:113]
	v_fma_f64 v[6:7], v[240:241], -0.5, v[6:7]
	v_add_f64 v[84:85], v[84:85], -v[92:93]
	v_add_f64 v[54:55], v[54:55], -v[56:57]
	v_add_f64 v[92:93], v[242:243], v[92:93]
	v_fma_f64 v[78:79], v[128:129], -0.5, v[78:79]
	v_add_f64 v[10:11], v[24:25], v[10:11]
	v_fma_f64 v[136:137], v[136:137], -0.5, v[228:229]
	v_fma_f64 v[100:101], v[146:147], s[6:7], v[62:63]
	v_add_f64 v[94:95], v[94:95], -v[30:31]
	v_fma_f64 v[128:129], v[144:145], s[6:7], v[66:67]
	v_add_f64 v[110:111], v[197:198], v[207:208]
	ds_read_b128 v[16:19], v249
	ds_read_b128 v[34:37], v212
	v_add_f64 v[112:113], v[234:235], v[112:113]
	v_fma_f64 v[138:139], v[138:139], -0.5, v[230:231]
	s_waitcnt lgkmcnt(0)
	s_waitcnt_vscnt null, 0x0
	s_barrier
	buffer_gl0_inv
	v_add_f64 v[114:115], v[16:17], v[203:204]
	v_add_f64 v[116:117], v[18:19], v[0:1]
	;; [unrolled: 1-line block ×3, first 2 shown]
	v_fma_f64 v[16:17], v[72:73], -0.5, v[16:17]
	v_add_f64 v[72:73], v[28:29], v[12:13]
	v_add_f64 v[120:121], v[34:35], v[80:81]
	v_fma_f64 v[50:51], v[86:87], -0.5, v[34:35]
	v_fma_f64 v[86:87], v[118:119], -0.5, v[36:37]
	v_add_f64 v[34:35], v[64:65], v[58:59]
	v_fma_f64 v[118:119], v[124:125], -0.5, v[224:225]
	v_fma_f64 v[124:125], v[126:127], -0.5, v[226:227]
	v_add_f64 v[126:127], v[46:47], v[42:43]
	v_add_f64 v[36:37], v[32:33], v[46:47]
	v_add_f64 v[224:225], v[46:47], -v[42:43]
	v_add_f64 v[46:47], v[90:91], v[179:180]
	v_add_f64 v[90:91], v[96:97], v[181:182]
	;; [unrolled: 1-line block ×3, first 2 shown]
	v_fma_f64 v[152:153], v[154:155], -0.5, v[177:178]
	v_add_f64 v[154:155], v[187:188], v[160:161]
	v_fma_f64 v[160:161], v[189:190], -0.5, v[175:176]
	v_add_f64 v[203:204], v[203:204], -v[108:109]
	v_add_f64 v[0:1], v[0:1], -v[4:5]
	v_add_f64 v[80:81], v[80:81], -v[88:89]
	v_add_f64 v[52:53], v[52:53], -v[44:45]
	v_fma_f64 v[18:19], v[82:83], -0.5, v[18:19]
	v_add_f64 v[82:83], v[28:29], -v[12:13]
	v_add_f64 v[108:109], v[114:115], v[108:109]
	v_add_f64 v[4:5], v[116:117], v[4:5]
	;; [unrolled: 1-line block ×3, first 2 shown]
	v_fma_f64 v[44:45], v[244:245], -0.5, v[76:77]
	v_add_f64 v[76:77], v[246:247], v[40:41]
	v_fma_f64 v[72:73], v[72:73], -0.5, v[38:39]
	v_add_f64 v[28:29], v[22:23], v[64:65]
	v_add_f64 v[64:65], v[64:65], -v[58:59]
	v_add_f64 v[88:89], v[120:121], v[88:89]
	v_add_f64 v[116:117], v[132:133], v[30:31]
	;; [unrolled: 1-line block ×4, first 2 shown]
	v_fma_f64 v[56:57], v[34:35], -0.5, v[22:23]
	v_fma_f64 v[60:61], v[126:127], -0.5, v[32:33]
	v_add_f64 v[120:121], v[134:135], v[20:21]
	v_add_f64 v[12:13], v[26:27], v[12:13]
	v_fma_f64 v[122:123], v[146:147], s[4:5], v[62:63]
	v_fma_f64 v[62:63], v[191:192], s[6:7], v[152:153]
	;; [unrolled: 1-line block ×6, first 2 shown]
	v_add_f64 v[20:21], v[46:47], v[96:97]
	v_add_f64 v[22:23], v[90:91], v[154:155]
	v_add_f64 v[24:25], v[46:47], -v[96:97]
	v_add_f64 v[26:27], v[90:91], -v[154:155]
	v_fma_f64 v[90:91], v[195:196], s[6:7], v[68:69]
	v_fma_f64 v[96:97], v[195:196], s[4:5], v[68:69]
	;; [unrolled: 1-line block ×8, first 2 shown]
	v_add_f64 v[181:182], v[36:37], v[42:43]
	v_add_f64 v[30:31], v[98:99], v[148:149]
	v_add_f64 v[34:35], v[98:99], -v[148:149]
	v_fma_f64 v[98:99], v[106:107], s[6:7], v[14:15]
	v_fma_f64 v[14:15], v[106:107], s[4:5], v[14:15]
	v_add_f64 v[38:39], v[4:5], v[8:9]
	v_add_f64 v[42:43], v[4:5], -v[8:9]
	v_fma_f64 v[4:5], v[52:53], s[6:7], v[50:51]
	v_fma_f64 v[8:9], v[52:53], s[4:5], v[50:51]
	;; [unrolled: 1-line block ×5, first 2 shown]
	v_add_f64 v[46:47], v[114:115], v[76:77]
	v_add_f64 v[50:51], v[114:115], -v[76:77]
	v_fma_f64 v[76:77], v[82:83], s[6:7], v[74:75]
	v_fma_f64 v[74:75], v[82:83], s[4:5], v[74:75]
	;; [unrolled: 1-line block ×9, first 2 shown]
	v_add_f64 v[44:45], v[88:89], v[92:93]
	v_add_f64 v[48:49], v[88:89], -v[92:93]
	v_fma_f64 v[84:85], v[224:225], s[6:7], v[56:57]
	v_fma_f64 v[88:89], v[224:225], s[4:5], v[56:57]
	v_add_f64 v[52:53], v[116:117], v[10:11]
	v_add_f64 v[56:57], v[116:117], -v[10:11]
	v_fma_f64 v[10:11], v[64:65], s[4:5], v[60:61]
	v_add_f64 v[179:180], v[28:29], v[58:59]
	v_fma_f64 v[158:159], v[54:55], s[6:7], v[136:137]
	v_fma_f64 v[160:161], v[54:55], s[4:5], v[136:137]
	v_add_f64 v[54:55], v[120:121], v[12:13]
	v_add_f64 v[58:59], v[120:121], -v[12:13]
	v_fma_f64 v[12:13], v[64:65], s[6:7], v[60:61]
	v_mul_f64 v[60:61], v[132:133], s[6:7]
	v_mul_f64 v[92:93], v[62:63], s[4:5]
	v_fma_f64 v[152:153], v[130:131], s[6:7], v[118:119]
	v_fma_f64 v[154:155], v[130:131], s[4:5], v[118:119]
	;; [unrolled: 1-line block ×4, first 2 shown]
	v_mul_f64 v[64:65], v[66:67], -0.5
	v_mul_f64 v[94:95], v[134:135], -0.5
	v_add_f64 v[28:29], v[2:3], v[110:111]
	v_add_f64 v[32:33], v[2:3], -v[110:111]
	v_mul_f64 v[102:103], v[144:145], s[6:7]
	v_mul_f64 v[110:111], v[68:69], s[4:5]
	v_add_f64 v[36:37], v[108:109], v[112:113]
	v_add_f64 v[40:41], v[108:109], -v[112:113]
	v_mul_f64 v[108:109], v[70:71], -0.5
	v_mul_f64 v[112:113], v[146:147], -0.5
	v_fma_f64 v[183:184], v[250:251], s[4:5], v[138:139]
	v_fma_f64 v[185:186], v[250:251], s[6:7], v[138:139]
	v_mul_f64 v[116:117], v[14:15], -0.5
	v_mul_f64 v[138:139], v[80:81], s[4:5]
	v_mul_f64 v[193:194], v[76:77], s[4:5]
	v_mul_f64 v[195:196], v[72:73], -0.5
	v_mul_f64 v[114:115], v[106:107], s[6:7]
	v_mul_f64 v[118:119], v[98:99], s[4:5]
	v_mul_f64 v[120:121], v[6:7], -0.5
	v_mul_f64 v[124:125], v[104:105], s[6:7]
	v_mul_f64 v[136:137], v[86:87], -0.5
	;; [unrolled: 2-line block ×3, first 2 shown]
	v_mul_f64 v[189:190], v[82:83], s[6:7]
	v_fma_f64 v[205:206], v[62:63], 0.5, v[60:61]
	v_fma_f64 v[92:93], v[132:133], 0.5, v[92:93]
	v_fma_f64 v[134:135], v[134:135], s[6:7], v[64:65]
	v_fma_f64 v[94:95], v[66:67], s[4:5], v[94:95]
	v_mul_f64 v[191:192], v[74:75], -0.5
	v_mul_f64 v[201:202], v[84:85], s[4:5]
	v_fma_f64 v[2:3], v[0:1], s[6:7], v[16:17]
	v_fma_f64 v[0:1], v[0:1], s[4:5], v[16:17]
	;; [unrolled: 1-line block ×4, first 2 shown]
	v_mul_f64 v[199:200], v[88:89], -0.5
	v_mul_f64 v[203:204], v[12:13], -0.5
	v_fma_f64 v[102:103], v[68:69], 0.5, v[102:103]
	v_fma_f64 v[110:111], v[144:145], 0.5, v[110:111]
	v_fma_f64 v[108:109], v[146:147], s[6:7], v[108:109]
	v_fma_f64 v[112:113], v[70:71], s[4:5], v[112:113]
	;; [unrolled: 1-line block ×3, first 2 shown]
	v_fma_f64 v[116:117], v[104:105], 0.5, v[138:139]
	v_fma_f64 v[138:139], v[82:83], 0.5, v[193:194]
	v_fma_f64 v[144:145], v[74:75], s[4:5], v[195:196]
	v_fma_f64 v[98:99], v[98:99], 0.5, v[114:115]
	v_fma_f64 v[106:107], v[106:107], 0.5, v[118:119]
	v_fma_f64 v[14:15], v[14:15], s[4:5], v[120:121]
	v_fma_f64 v[114:115], v[80:81], 0.5, v[124:125]
	v_fma_f64 v[120:121], v[78:79], s[6:7], v[136:137]
	;; [unrolled: 2-line block ×3, first 2 shown]
	v_fma_f64 v[132:133], v[76:77], 0.5, v[189:190]
	v_add_f64 v[60:61], v[100:101], v[205:206]
	v_add_f64 v[62:63], v[126:127], v[92:93]
	;; [unrolled: 1-line block ×4, first 2 shown]
	v_fma_f64 v[136:137], v[72:73], s[6:7], v[191:192]
	v_fma_f64 v[10:11], v[10:11], 0.5, v[201:202]
	v_fma_f64 v[12:13], v[12:13], s[6:7], v[199:200]
	v_fma_f64 v[187:188], v[88:89], s[4:5], v[203:204]
	v_add_f64 v[64:65], v[100:101], -v[205:206]
	v_add_f64 v[66:67], v[126:127], -v[92:93]
	;; [unrolled: 1-line block ×6, first 2 shown]
	v_add_f64 v[76:77], v[90:91], v[102:103]
	v_add_f64 v[78:79], v[140:141], v[110:111]
	v_add_f64 v[88:89], v[96:97], -v[108:109]
	v_add_f64 v[90:91], v[142:143], -v[112:113]
	v_add_f64 v[84:85], v[96:97], v[108:109]
	v_add_f64 v[86:87], v[142:143], v[112:113]
	;; [unrolled: 1-line block ×3, first 2 shown]
	v_add_f64 v[130:131], v[130:131], -v[138:139]
	v_add_f64 v[134:135], v[156:157], v[144:145]
	v_add_f64 v[138:139], v[156:157], -v[144:145]
	v_mov_b32_e32 v144, 0x3c0
	v_mov_b32_e32 v145, 4
	v_add_f64 v[92:93], v[2:3], v[98:99]
	v_add_f64 v[96:97], v[2:3], -v[98:99]
	v_add_f64 v[98:99], v[16:17], -v[106:107]
	v_add_f64 v[94:95], v[16:17], v[106:107]
	v_add_f64 v[104:105], v[0:1], -v[6:7]
	v_add_f64 v[106:107], v[18:19], -v[14:15]
	v_add_f64 v[100:101], v[0:1], v[6:7]
	v_add_f64 v[102:103], v[18:19], v[14:15]
	v_add_f64 v[108:109], v[4:5], v[114:115]
	v_add_f64 v[110:111], v[148:149], v[116:117]
	v_add_f64 v[112:113], v[4:5], -v[114:115]
	v_add_f64 v[114:115], v[148:149], -v[116:117]
	v_add_f64 v[116:117], v[8:9], v[120:121]
	v_add_f64 v[120:121], v[8:9], -v[120:121]
	v_add_f64 v[4:5], v[158:159], v[146:147]
	v_add_f64 v[8:9], v[158:159], -v[146:147]
	v_mul_u32_u24_sdwa v146, v172, v144 dst_sel:DWORD dst_unused:UNUSED_PAD src0_sel:WORD_0 src1_sel:DWORD
	v_lshlrev_b32_sdwa v147, v145, v213 dst_sel:DWORD dst_unused:UNUSED_PAD src0_sel:DWORD src1_sel:BYTE_0
	v_lshlrev_b32_sdwa v148, v145, v215 dst_sel:DWORD dst_unused:UNUSED_PAD src0_sel:DWORD src1_sel:BYTE_0
	v_add_f64 v[122:123], v[150:151], -v[124:125]
	v_add_f64 v[118:119], v[150:151], v[124:125]
	v_add_f64 v[124:125], v[152:153], v[132:133]
	v_add3_u32 v146, 0, v146, v147
	v_mul_u32_u24_sdwa v147, v214, v144 dst_sel:DWORD dst_unused:UNUSED_PAD src0_sel:WORD_0 src1_sel:DWORD
	ds_write_b128 v146, v[20:23]
	ds_write_b128 v146, v[60:63] offset:160
	ds_write_b128 v146, v[68:71] offset:320
	;; [unrolled: 1-line block ×3, first 2 shown]
	v_add3_u32 v20, 0, v147, v148
	v_mul_u32_u24_sdwa v21, v216, v144 dst_sel:DWORD dst_unused:UNUSED_PAD src0_sel:WORD_0 src1_sel:DWORD
	v_lshlrev_b32_sdwa v22, v145, v217 dst_sel:DWORD dst_unused:UNUSED_PAD src0_sel:DWORD src1_sel:BYTE_0
	v_add_f64 v[128:129], v[152:153], -v[132:133]
	v_add_f64 v[132:133], v[154:155], v[136:137]
	v_add_f64 v[6:7], v[183:184], v[10:11]
	;; [unrolled: 1-line block ×4, first 2 shown]
	v_add_f64 v[0:1], v[175:176], -v[179:180]
	v_add_f64 v[2:3], v[177:178], -v[181:182]
	ds_write_b128 v146, v[64:67] offset:640
	ds_write_b128 v146, v[72:75] offset:800
	ds_write_b128 v20, v[28:31]
	ds_write_b128 v20, v[76:79] offset:160
	ds_write_b128 v20, v[84:87] offset:320
	;; [unrolled: 1-line block ×3, first 2 shown]
	v_add3_u32 v21, 0, v21, v22
	ds_write_b128 v20, v[80:83] offset:640
	ds_write_b128 v20, v[88:91] offset:800
	v_mul_u32_u24_sdwa v20, v218, v144 dst_sel:DWORD dst_unused:UNUSED_PAD src0_sel:WORD_0 src1_sel:DWORD
	v_lshlrev_b32_sdwa v22, v145, v220 dst_sel:DWORD dst_unused:UNUSED_PAD src0_sel:DWORD src1_sel:BYTE_0
	v_add_f64 v[136:137], v[154:155], -v[136:137]
	v_add_f64 v[10:11], v[183:184], -v[10:11]
	v_add_f64 v[140:141], v[175:176], v[179:180]
	v_add_f64 v[142:143], v[177:178], v[181:182]
	ds_write_b128 v21, v[36:39]
	ds_write_b128 v21, v[92:95] offset:160
	ds_write_b128 v21, v[100:103] offset:320
	;; [unrolled: 1-line block ×3, first 2 shown]
	v_add3_u32 v20, 0, v20, v22
	ds_write_b128 v21, v[96:99] offset:640
	ds_write_b128 v21, v[104:107] offset:800
	v_mul_u32_u24_e32 v21, 0x3c0, v219
	v_lshlrev_b32_sdwa v22, v145, v223 dst_sel:DWORD dst_unused:UNUSED_PAD src0_sel:DWORD src1_sel:WORD_0
	v_lshlrev_b32_sdwa v23, v145, v222 dst_sel:DWORD dst_unused:UNUSED_PAD src0_sel:DWORD src1_sel:WORD_0
	v_add_f64 v[12:13], v[160:161], -v[12:13]
	v_add_f64 v[14:15], v[185:186], -v[187:188]
	ds_write_b128 v20, v[44:47]
	ds_write_b128 v20, v[108:111] offset:160
	ds_write_b128 v20, v[116:119] offset:320
	;; [unrolled: 1-line block ×3, first 2 shown]
	v_add3_u32 v21, 0, v21, v22
	v_mul_u32_u24_e32 v22, 0x3c0, v221
	ds_write_b128 v20, v[112:115] offset:640
	ds_write_b128 v20, v[120:123] offset:800
	ds_write_b128 v21, v[52:55]
	ds_write_b128 v21, v[124:127] offset:160
	v_add3_u32 v20, 0, v22, v23
	ds_write_b128 v21, v[132:135] offset:320
	ds_write_b128 v21, v[56:59] offset:480
	;; [unrolled: 1-line block ×4, first 2 shown]
	ds_write_b128 v20, v[140:143]
	ds_write_b128 v20, v[4:7] offset:160
	ds_write_b128 v20, v[16:19] offset:320
	ds_write_b128 v20, v[0:3] offset:480
	ds_write_b128 v20, v[8:11] offset:640
	v_mul_lo_u16 v0, 0x89, v163
	v_mul_u32_u24_e32 v21, 5, v162
	v_mul_lo_u16 v1, 0x89, v167
	v_mov_b32_e32 v2, 0x8889
	v_lshrrev_b16 v0, 13, v0
	v_lshlrev_b32_e32 v172, 4, v21
	v_lshrrev_b16 v1, 13, v1
	ds_write_b128 v20, v[12:15] offset:800
	s_waitcnt lgkmcnt(0)
	v_mul_lo_u16 v0, v0, 60
	s_barrier
	buffer_gl0_inv
	s_clause 0x1
	global_load_dwordx4 v[60:63], v172, s[12:13] offset:800
	global_load_dwordx4 v[80:83], v172, s[12:13] offset:816
	v_sub_nc_u16 v0, v248, v0
	s_clause 0x1
	global_load_dwordx4 v[64:67], v172, s[12:13] offset:832
	global_load_dwordx4 v[88:91], v172, s[12:13] offset:848
	v_mul_lo_u16 v1, v1, 60
	v_mul_u32_u24_sdwa v3, v174, v2 dst_sel:DWORD dst_unused:UNUSED_PAD src0_sel:WORD_0 src1_sel:DWORD
	global_load_dwordx4 v[84:87], v172, s[12:13] offset:864
	v_and_b32_e32 v163, 0xff, v0
	v_sub_nc_u16 v1, v170, v1
	v_lshrrev_b32_e32 v3, 21, v3
	v_mul_u32_u24_e32 v0, 5, v163
	v_and_b32_e32 v167, 0xff, v1
	v_mul_lo_u16 v1, v3, 60
	v_lshlrev_b32_e32 v0, 4, v0
	v_mul_u32_u24_e32 v3, 5, v167
	s_clause 0x4
	global_load_dwordx4 v[96:99], v0, s[12:13] offset:864
	global_load_dwordx4 v[92:95], v0, s[12:13] offset:800
	;; [unrolled: 1-line block ×5, first 2 shown]
	v_sub_nc_u16 v0, v174, v1
	v_mul_u32_u24_sdwa v1, v173, v2 dst_sel:DWORD dst_unused:UNUSED_PAD src0_sel:WORD_0 src1_sel:DWORD
	v_lshlrev_b32_e32 v2, 4, v3
	s_clause 0x1
	global_load_dwordx4 v[128:131], v2, s[12:13] offset:800
	global_load_dwordx4 v[124:127], v2, s[12:13] offset:816
	v_and_b32_e32 v186, 0xffff, v0
	v_lshrrev_b32_e32 v0, 21, v1
	s_clause 0x1
	global_load_dwordx4 v[120:123], v2, s[12:13] offset:832
	global_load_dwordx4 v[112:115], v2, s[12:13] offset:848
	v_mov_b32_e32 v3, v173
	buffer_store_dword v3, off, s[28:31], 0 offset:16 ; 4-byte Folded Spill
	buffer_store_dword v4, off, s[28:31], 0 offset:20 ; 4-byte Folded Spill
	v_mul_lo_u16 v0, v0, 60
	v_mul_u32_u24_e32 v1, 5, v186
	global_load_dwordx4 v[116:119], v2, s[12:13] offset:864
	v_sub_nc_u16 v0, v173, v0
	v_lshlrev_b32_e32 v12, 4, v1
	v_mov_b32_e32 v173, v170
	v_and_b32_e32 v185, 0xffff, v0
	s_clause 0x3
	global_load_dwordx4 v[8:11], v12, s[12:13] offset:800
	global_load_dwordx4 v[0:3], v12, s[12:13] offset:816
	;; [unrolled: 1-line block ×4, first 2 shown]
	v_mul_u32_u24_e32 v13, 5, v185
	v_lshlrev_b32_e32 v36, 4, v13
	s_clause 0x5
	global_load_dwordx4 v[12:15], v12, s[12:13] offset:864
	global_load_dwordx4 v[32:35], v36, s[12:13] offset:800
	;; [unrolled: 1-line block ×6, first 2 shown]
	ds_read_b128 v[72:75], v209 offset:5760
	ds_read_b128 v[76:79], v209 offset:6720
	;; [unrolled: 1-line block ×26, first 2 shown]
	s_waitcnt vmcnt(24) lgkmcnt(25)
	v_mul_f64 v[132:133], v[74:75], v[62:63]
	v_mul_f64 v[134:135], v[72:73], v[62:63]
	s_waitcnt lgkmcnt(24)
	v_mul_f64 v[152:153], v[78:79], v[62:63]
	v_mul_f64 v[62:63], v[76:77], v[62:63]
	s_waitcnt vmcnt(23) lgkmcnt(23)
	v_mul_f64 v[154:155], v[142:143], v[82:83]
	v_mul_f64 v[156:157], v[140:141], v[82:83]
	s_waitcnt lgkmcnt(22)
	v_mul_f64 v[158:159], v[146:147], v[82:83]
	v_mul_f64 v[82:83], v[144:145], v[82:83]
	;; [unrolled: 6-line block ×3, first 2 shown]
	s_waitcnt vmcnt(21) lgkmcnt(19)
	v_mul_f64 v[210:211], v[189:190], v[90:91]
	v_mul_f64 v[250:251], v[187:188], v[90:91]
	s_waitcnt lgkmcnt(18)
	v_mul_f64 v[252:253], v[193:194], v[90:91]
	v_fma_f64 v[138:139], v[72:73], v[60:61], -v[132:133]
	v_fma_f64 v[136:137], v[74:75], v[60:61], v[134:135]
	v_fma_f64 v[134:135], v[76:77], v[60:61], -v[152:153]
	v_fma_f64 v[132:133], v[78:79], v[60:61], v[62:63]
	v_mul_f64 v[60:61], v[191:192], v[90:91]
	v_fma_f64 v[152:153], v[140:141], v[80:81], -v[154:155]
	v_fma_f64 v[154:155], v[142:143], v[80:81], v[156:157]
	s_waitcnt vmcnt(20) lgkmcnt(17)
	v_mul_f64 v[62:63], v[197:198], v[86:87]
	v_fma_f64 v[156:157], v[144:145], v[80:81], -v[158:159]
	v_fma_f64 v[158:159], v[146:147], v[80:81], v[82:83]
	v_mul_f64 v[90:91], v[195:196], v[86:87]
	s_waitcnt lgkmcnt(16)
	v_mul_f64 v[146:147], v[201:202], v[86:87]
	v_mul_f64 v[86:87], v[199:200], v[86:87]
	s_waitcnt vmcnt(17) lgkmcnt(13)
	v_mul_f64 v[170:171], v[219:220], v[110:111]
	v_mul_f64 v[254:255], v[205:206], v[94:95]
	;; [unrolled: 1-line block ×3, first 2 shown]
	v_fma_f64 v[177:178], v[148:149], v[64:65], -v[160:161]
	v_fma_f64 v[160:161], v[183:184], v[64:65], v[66:67]
	v_mul_f64 v[183:184], v[217:218], v[110:111]
	v_fma_f64 v[110:111], v[187:188], v[88:89], -v[210:211]
	s_waitcnt vmcnt(16) lgkmcnt(11)
	v_mul_f64 v[187:188], v[227:228], v[106:107]
	v_fma_f64 v[179:180], v[150:151], v[64:65], v[175:176]
	v_fma_f64 v[175:176], v[181:182], v[64:65], -v[207:208]
	v_fma_f64 v[140:141], v[189:190], v[88:89], v[250:251]
	v_fma_f64 v[142:143], v[191:192], v[88:89], -v[252:253]
	v_mul_f64 v[189:190], v[225:226], v[106:107]
	v_fma_f64 v[144:145], v[193:194], v[88:89], v[60:61]
	s_waitcnt vmcnt(15) lgkmcnt(9)
	v_mul_f64 v[191:192], v[235:236], v[102:103]
	v_mul_f64 v[193:194], v[233:234], v[102:103]
	v_fma_f64 v[150:151], v[195:196], v[84:85], -v[62:63]
	s_waitcnt lgkmcnt(7)
	v_mul_f64 v[195:196], v[243:244], v[98:99]
	ds_read_b128 v[76:79], v209 offset:26880
	ds_read_b128 v[72:75], v209 offset:27840
	v_fma_f64 v[148:149], v[197:198], v[84:85], v[90:91]
	v_fma_f64 v[146:147], v[199:200], v[84:85], -v[146:147]
	v_fma_f64 v[102:103], v[201:202], v[84:85], v[86:87]
	v_mul_f64 v[197:198], v[241:242], v[98:99]
	s_waitcnt vmcnt(14)
	v_mul_f64 v[199:200], v[215:216], v[130:131]
	v_fma_f64 v[181:182], v[217:218], v[108:109], -v[170:171]
	v_mul_f64 v[170:171], v[213:214], v[130:131]
	s_waitcnt vmcnt(13)
	v_mul_f64 v[201:202], v[223:224], v[126:127]
	v_fma_f64 v[106:107], v[203:204], v[92:93], -v[254:255]
	v_fma_f64 v[98:99], v[205:206], v[92:93], v[94:95]
	v_mul_f64 v[203:204], v[221:222], v[126:127]
	s_waitcnt vmcnt(12)
	v_mul_f64 v[205:206], v[231:232], v[122:123]
	v_fma_f64 v[126:127], v[225:226], v[104:105], -v[187:188]
	s_waitcnt vmcnt(11)
	v_mul_f64 v[187:188], v[239:240], v[114:115]
	ds_read_b128 v[80:83], v209 offset:33600
	ds_read_b128 v[64:67], v209
	ds_read_b128 v[88:91], v209 offset:32640
	v_lshl_add_u32 v60, v166, 4, 0
	v_fma_f64 v[183:184], v[219:220], v[108:109], v[183:184]
	v_fma_f64 v[130:131], v[227:228], v[104:105], v[189:190]
	v_mul_f64 v[189:190], v[237:238], v[114:115]
	v_fma_f64 v[104:105], v[233:234], v[100:101], -v[191:192]
	ds_read_b128 v[60:63], v60
	v_fma_f64 v[100:101], v[235:236], v[100:101], v[193:194]
	s_waitcnt vmcnt(9) lgkmcnt(11)
	v_mul_f64 v[191:192], v[42:43], v[10:11]
	v_mul_f64 v[193:194], v[40:41], v[10:11]
	s_waitcnt vmcnt(8) lgkmcnt(9)
	v_mul_f64 v[210:211], v[58:59], v[2:3]
	v_fma_f64 v[108:109], v[241:242], v[96:97], -v[195:196]
	v_fma_f64 v[10:11], v[243:244], v[96:97], v[197:198]
	v_mul_f64 v[195:196], v[56:57], v[2:3]
	s_waitcnt vmcnt(7) lgkmcnt(7)
	v_mul_f64 v[197:198], v[70:71], v[18:19]
	v_mul_f64 v[217:218], v[68:69], v[18:19]
	s_waitcnt vmcnt(6) lgkmcnt(5)
	v_mul_f64 v[219:220], v[78:79], v[6:7]
	v_fma_f64 v[18:19], v[213:214], v[128:129], -v[199:200]
	v_fma_f64 v[2:3], v[215:216], v[128:129], v[170:171]
	v_mul_f64 v[128:129], v[76:77], v[6:7]
	v_fma_f64 v[114:115], v[221:222], v[124:125], -v[201:202]
	s_waitcnt vmcnt(3)
	v_mul_f64 v[201:202], v[50:51], v[30:31]
	v_mul_f64 v[122:123], v[229:230], v[122:123]
	;; [unrolled: 1-line block ×4, first 2 shown]
	v_fma_f64 v[96:97], v[223:224], v[124:125], v[203:204]
	v_mul_f64 v[203:204], v[48:49], v[30:31]
	s_waitcnt vmcnt(2)
	v_mul_f64 v[215:216], v[54:55], v[26:27]
	v_fma_f64 v[30:31], v[229:230], v[120:121], -v[205:206]
	v_mul_f64 v[205:206], v[52:53], v[26:27]
	s_waitcnt vmcnt(1) lgkmcnt(4)
	v_mul_f64 v[221:222], v[74:75], v[22:23]
	s_waitcnt lgkmcnt(1)
	v_mul_f64 v[170:171], v[90:91], v[14:15]
	v_mul_f64 v[199:200], v[88:89], v[14:15]
	;; [unrolled: 1-line block ×5, first 2 shown]
	s_waitcnt vmcnt(0)
	v_mul_f64 v[225:226], v[82:83], v[38:39]
	v_fma_f64 v[6:7], v[237:238], v[112:113], -v[187:188]
	v_mul_f64 v[38:39], v[80:81], v[38:39]
	v_fma_f64 v[14:15], v[239:240], v[112:113], v[189:190]
	v_fma_f64 v[112:113], v[40:41], v[8:9], -v[191:192]
	v_fma_f64 v[189:190], v[68:69], v[16:17], -v[197:198]
	v_fma_f64 v[191:192], v[70:71], v[16:17], v[217:218]
	v_fma_f64 v[16:17], v[76:77], v[4:5], -v[219:220]
	v_fma_f64 v[4:5], v[78:79], v[4:5], v[128:129]
	v_fma_f64 v[128:129], v[48:49], v[28:29], -v[201:202]
	v_add_f64 v[48:49], v[177:178], v[150:151]
	v_fma_f64 v[34:35], v[231:232], v[120:121], v[122:123]
	v_fma_f64 v[22:23], v[247:248], v[116:117], v[118:119]
	;; [unrolled: 1-line block ×3, first 2 shown]
	v_fma_f64 v[8:9], v[56:57], v[0:1], -v[210:211]
	v_fma_f64 v[0:1], v[58:59], v[0:1], v[195:196]
	v_fma_f64 v[193:194], v[52:53], v[24:25], -v[215:216]
	v_fma_f64 v[195:196], v[54:55], v[24:25], v[205:206]
	v_fma_f64 v[197:198], v[72:73], v[20:21], -v[221:222]
	v_add_f64 v[24:25], v[156:157], v[142:143]
	v_add_f64 v[72:73], v[179:180], v[148:149]
	v_fma_f64 v[26:27], v[245:246], v[116:117], -v[207:208]
	v_fma_f64 v[78:79], v[88:89], v[12:13], -v[170:171]
	v_fma_f64 v[88:89], v[90:91], v[12:13], v[199:200]
	v_fma_f64 v[90:91], v[44:45], v[32:33], -v[213:214]
	v_fma_f64 v[124:125], v[46:47], v[32:33], v[124:125]
	v_fma_f64 v[170:171], v[50:51], v[28:29], v[203:204]
	;; [unrolled: 1-line block ×3, first 2 shown]
	v_fma_f64 v[80:81], v[80:81], v[36:37], -v[225:226]
	v_fma_f64 v[201:202], v[82:83], v[36:37], v[38:39]
	v_add_f64 v[12:13], v[152:153], v[110:111]
	v_add_f64 v[20:21], v[154:155], v[140:141]
	;; [unrolled: 1-line block ×8, first 2 shown]
	s_waitcnt lgkmcnt(0)
	v_add_f64 v[54:55], v[62:63], v[158:159]
	v_add_f64 v[74:75], v[154:155], -v[140:141]
	v_add_f64 v[76:77], v[152:153], -v[110:111]
	v_add_f64 v[152:153], v[175:176], v[146:147]
	v_add_f64 v[154:155], v[179:180], -v[148:149]
	v_add_f64 v[179:180], v[132:133], v[160:161]
	v_add_f64 v[203:204], v[160:161], v[102:103]
	;; [unrolled: 1-line block ×4, first 2 shown]
	ds_read_b128 v[84:87], v249
	ds_read_b128 v[92:95], v212
	ds_read_b128 v[116:119], v209 offset:3840
	ds_read_b128 v[120:123], v209 offset:4800
	v_add_f64 v[36:37], v[183:184], v[100:101]
	v_add_f64 v[28:29], v[158:159], v[144:145]
	;; [unrolled: 1-line block ×4, first 2 shown]
	v_fma_f64 v[48:49], v[48:49], -0.5, v[138:139]
	v_add_f64 v[177:178], v[177:178], -v[150:151]
	v_add_f64 v[221:222], v[34:35], v[22:23]
	v_fma_f64 v[24:25], v[24:25], -0.5, v[60:61]
	v_fma_f64 v[60:61], v[72:73], -0.5, v[136:137]
	v_add_f64 v[40:41], v[96:97], v[14:15]
	v_add_f64 v[175:176], v[175:176], -v[146:147]
	v_add_f64 v[205:206], v[106:107], v[126:127]
	v_add_f64 v[210:211], v[98:99], v[130:131]
	v_add_f64 v[160:161], v[160:161], -v[102:103]
	v_add_f64 v[130:131], v[130:131], -v[10:11]
	;; [unrolled: 1-line block ×3, first 2 shown]
	v_add_f64 v[217:218], v[30:31], v[26:27]
	s_waitcnt lgkmcnt(3)
	v_add_f64 v[56:57], v[84:85], v[181:182]
	v_add_f64 v[58:59], v[86:87], v[183:184]
	s_waitcnt lgkmcnt(2)
	v_add_f64 v[68:69], v[92:93], v[114:115]
	v_add_f64 v[183:184], v[183:184], -v[100:101]
	s_waitcnt lgkmcnt(1)
	v_add_f64 v[223:224], v[116:117], v[8:9]
	v_add_f64 v[225:226], v[8:9], v[16:17]
	;; [unrolled: 1-line block ×3, first 2 shown]
	v_add_f64 v[235:236], v[8:9], -v[16:17]
	v_add_f64 v[8:9], v[193:194], v[80:81]
	v_fma_f64 v[12:13], v[12:13], -0.5, v[64:65]
	v_fma_f64 v[20:21], v[20:21], -0.5, v[66:67]
	;; [unrolled: 1-line block ×4, first 2 shown]
	v_add_f64 v[42:43], v[42:43], v[110:111]
	v_add_f64 v[44:45], v[44:45], v[140:141]
	;; [unrolled: 1-line block ×5, first 2 shown]
	v_fma_f64 v[64:65], v[152:153], -0.5, v[134:135]
	v_add_f64 v[66:67], v[179:180], v[102:103]
	v_fma_f64 v[72:73], v[203:204], -0.5, v[132:133]
	v_fma_f64 v[84:85], v[207:208], -0.5, v[106:107]
	;; [unrolled: 1-line block ×3, first 2 shown]
	v_add_f64 v[181:182], v[181:182], -v[104:105]
	v_fma_f64 v[36:37], v[36:37], -0.5, v[86:87]
	v_add_f64 v[70:71], v[94:95], v[96:97]
	v_fma_f64 v[28:29], v[28:29], -0.5, v[62:63]
	v_add_f64 v[52:53], v[52:53], v[142:143]
	v_add_f64 v[62:63], v[82:83], v[146:147]
	v_fma_f64 v[136:137], v[154:155], s[6:7], v[48:49]
	v_add_f64 v[215:216], v[18:19], v[30:31]
	v_add_f64 v[219:220], v[2:3], v[34:35]
	v_add_f64 v[30:31], v[30:31], -v[26:27]
	v_fma_f64 v[2:3], v[221:222], -0.5, v[2:3]
	v_fma_f64 v[138:139], v[177:178], s[4:5], v[60:61]
	v_add_f64 v[158:159], v[158:159], -v[144:145]
	v_add_f64 v[156:157], v[156:157], -v[142:143]
	;; [unrolled: 1-line block ×3, first 2 shown]
	v_add_f64 v[231:232], v[191:192], v[88:89]
	v_add_f64 v[96:97], v[96:97], -v[14:15]
	v_add_f64 v[34:35], v[34:35], -v[22:23]
	;; [unrolled: 1-line block ×3, first 2 shown]
	v_add_f64 v[0:1], v[118:119], v[0:1]
	v_fma_f64 v[40:41], v[40:41], -0.5, v[94:95]
	v_add_f64 v[56:57], v[56:57], v[104:105]
	v_add_f64 v[58:59], v[58:59], v[100:101]
	;; [unrolled: 1-line block ×5, first 2 shown]
	v_fma_f64 v[68:69], v[217:218], -0.5, v[18:19]
	v_add_f64 v[132:133], v[223:224], v[16:17]
	v_fma_f64 v[104:105], v[227:228], -0.5, v[118:119]
	v_fma_f64 v[110:111], v[8:9], -0.5, v[90:91]
	v_fma_f64 v[118:119], v[74:75], s[6:7], v[12:13]
	v_fma_f64 v[74:75], v[74:75], s[4:5], v[12:13]
	;; [unrolled: 1-line block ×6, first 2 shown]
	v_add_f64 v[6:7], v[42:43], v[46:47]
	v_add_f64 v[8:9], v[44:45], v[50:51]
	v_add_f64 v[10:11], v[42:43], -v[46:47]
	v_add_f64 v[12:13], v[44:45], -v[50:51]
	v_fma_f64 v[42:43], v[160:161], s[6:7], v[64:65]
	v_fma_f64 v[44:45], v[160:161], s[4:5], v[64:65]
	;; [unrolled: 1-line block ×3, first 2 shown]
	v_add_f64 v[16:17], v[54:55], v[66:67]
	v_add_f64 v[20:21], v[54:55], -v[66:67]
	v_fma_f64 v[66:67], v[183:184], s[6:7], v[32:33]
	v_fma_f64 v[146:147], v[183:184], s[4:5], v[32:33]
	;; [unrolled: 1-line block ×4, first 2 shown]
	v_add_f64 v[229:230], v[189:190], v[78:79]
	v_fma_f64 v[64:65], v[175:176], s[6:7], v[72:73]
	v_fma_f64 v[72:73], v[181:182], s[4:5], v[36:37]
	;; [unrolled: 1-line block ×4, first 2 shown]
	v_add_f64 v[100:101], v[70:71], v[14:15]
	v_add_f64 v[14:15], v[52:53], v[62:63]
	v_add_f64 v[18:19], v[52:53], -v[62:63]
	v_fma_f64 v[52:53], v[126:127], s[4:5], v[92:93]
	v_mul_f64 v[126:127], v[136:137], s[4:5]
	v_add_f64 v[243:244], v[195:196], v[201:202]
	v_fma_f64 v[84:85], v[30:31], s[4:5], v[2:3]
	v_mul_f64 v[62:63], v[138:139], s[6:7]
	v_add_f64 v[239:240], v[189:190], -v[78:79]
	v_add_f64 v[98:99], v[215:216], v[26:27]
	v_add_f64 v[102:103], v[219:220], v[22:23]
	v_fma_f64 v[108:109], v[231:232], -0.5, v[187:188]
	v_fma_f64 v[50:51], v[158:159], s[6:7], v[24:25]
	v_fma_f64 v[140:141], v[158:159], s[4:5], v[24:25]
	;; [unrolled: 1-line block ×4, first 2 shown]
	v_add_f64 v[22:23], v[56:57], v[82:83]
	v_add_f64 v[24:25], v[58:59], v[86:87]
	v_fma_f64 v[92:93], v[34:35], s[4:5], v[68:69]
	v_add_f64 v[26:27], v[56:57], -v[82:83]
	v_add_f64 v[28:29], v[58:59], -v[86:87]
	v_mul_f64 v[56:57], v[48:49], -0.5
	v_mul_f64 v[58:59], v[60:61], -0.5
	v_fma_f64 v[130:131], v[96:97], s[6:7], v[38:39]
	v_fma_f64 v[96:97], v[96:97], s[4:5], v[38:39]
	v_mul_f64 v[38:39], v[46:47], s[6:7]
	v_mul_f64 v[82:83], v[42:43], s[4:5]
	v_fma_f64 v[150:151], v[114:115], s[4:5], v[40:41]
	v_fma_f64 v[114:115], v[114:115], s[6:7], v[40:41]
	v_mul_f64 v[40:41], v[44:45], -0.5
	v_fma_f64 v[34:35], v[34:35], s[6:7], v[68:69]
	v_mul_f64 v[68:69], v[32:33], s[4:5]
	v_mul_f64 v[154:155], v[54:55], -0.5
	v_add_f64 v[237:238], v[191:192], -v[88:89]
	v_fma_f64 v[70:71], v[225:226], -0.5, v[116:117]
	v_fma_f64 v[106:107], v[229:230], -0.5, v[112:113]
	v_mul_f64 v[86:87], v[64:65], -0.5
	v_mul_f64 v[152:153], v[36:37], -0.5
	v_fma_f64 v[2:3], v[30:31], s[6:7], v[2:3]
	v_mul_f64 v[30:31], v[52:53], s[6:7]
	v_fma_f64 v[126:127], v[138:139], 0.5, v[126:127]
	v_add_f64 v[247:248], v[195:196], -v[201:202]
	v_add_f64 v[250:251], v[193:194], -v[80:81]
	v_fma_f64 v[116:117], v[243:244], -0.5, v[124:125]
	v_mul_f64 v[156:157], v[84:85], s[6:7]
	v_fma_f64 v[62:63], v[136:137], 0.5, v[62:63]
	v_fma_f64 v[56:57], v[60:61], s[6:7], v[56:57]
	v_fma_f64 v[48:49], v[48:49], s[4:5], v[58:59]
	v_fma_f64 v[58:59], v[42:43], 0.5, v[38:39]
	v_fma_f64 v[60:61], v[46:47], 0.5, v[82:83]
	v_fma_f64 v[82:83], v[239:240], s[4:5], v[108:109]
	v_fma_f64 v[108:109], v[239:240], s[6:7], v[108:109]
	;; [unrolled: 1-line block ×3, first 2 shown]
	v_fma_f64 v[68:69], v[52:53], 0.5, v[68:69]
	v_fma_f64 v[154:155], v[36:37], s[4:5], v[154:155]
	v_add_f64 v[241:242], v[128:129], v[197:198]
	v_fma_f64 v[136:137], v[233:234], s[6:7], v[70:71]
	v_fma_f64 v[138:139], v[233:234], s[4:5], v[70:71]
	;; [unrolled: 1-line block ×6, first 2 shown]
	v_mul_f64 v[86:87], v[34:35], s[4:5]
	v_fma_f64 v[177:178], v[32:33], 0.5, v[30:31]
	v_add_f64 v[32:33], v[134:135], v[126:127]
	v_add_f64 v[36:37], v[134:135], -v[126:127]
	v_add_f64 v[134:135], v[187:188], v[191:192]
	v_add_f64 v[245:246], v[170:171], v[199:200]
	v_mul_f64 v[158:159], v[92:93], -0.5
	v_mul_f64 v[175:176], v[2:3], -0.5
	v_fma_f64 v[156:157], v[34:35], 0.5, v[156:157]
	v_add_f64 v[30:31], v[118:119], v[62:63]
	v_add_f64 v[34:35], v[118:119], -v[62:63]
	v_fma_f64 v[118:119], v[250:251], s[4:5], v[116:117]
	v_fma_f64 v[126:127], v[247:248], s[4:5], v[110:111]
	;; [unrolled: 1-line block ×3, first 2 shown]
	v_add_f64 v[40:41], v[76:77], v[48:49]
	v_add_f64 v[44:45], v[76:77], -v[48:49]
	v_add_f64 v[46:47], v[50:51], v[58:59]
	v_add_f64 v[50:51], v[50:51], -v[58:59]
	;; [unrolled: 2-line block ×5, first 2 shown]
	v_add_f64 v[112:113], v[112:113], v[189:190]
	v_mul_f64 v[148:149], v[108:109], -0.5
	v_fma_f64 v[116:117], v[250:251], s[6:7], v[116:117]
	v_add_f64 v[38:39], v[74:75], v[56:57]
	v_add_f64 v[42:43], v[74:75], -v[56:57]
	v_add_f64 v[48:49], v[142:143], v[60:61]
	v_add_f64 v[52:53], v[142:143], -v[60:61]
	;; [unrolled: 2-line block ×3, first 2 shown]
	v_mul_f64 v[144:145], v[106:107], -0.5
	v_add_f64 v[70:71], v[146:147], v[152:153]
	v_add_f64 v[74:75], v[146:147], -v[152:153]
	v_mul_f64 v[142:143], v[82:83], s[6:7]
	v_mul_f64 v[146:147], v[160:161], s[4:5]
	s_waitcnt lgkmcnt(0)
	v_add_f64 v[140:141], v[120:121], v[128:129]
	v_fma_f64 v[154:155], v[84:85], 0.5, v[86:87]
	v_add_f64 v[86:87], v[122:123], v[170:171]
	v_add_f64 v[90:91], v[90:91], v[193:194]
	;; [unrolled: 1-line block ×4, first 2 shown]
	v_fma_f64 v[2:3], v[2:3], s[6:7], v[158:159]
	v_fma_f64 v[120:121], v[241:242], -0.5, v[120:121]
	v_add_f64 v[152:153], v[170:171], -v[199:200]
	v_fma_f64 v[158:159], v[92:93], s[4:5], v[175:176]
	v_fma_f64 v[175:176], v[235:236], s[4:5], v[104:105]
	v_fma_f64 v[84:85], v[245:246], -0.5, v[122:123]
	v_add_f64 v[92:93], v[128:129], -v[197:198]
	v_fma_f64 v[128:129], v[235:236], s[6:7], v[104:105]
	v_mul_f64 v[104:105], v[118:119], s[6:7]
	v_mul_f64 v[124:125], v[110:111], s[4:5]
	v_add_f64 v[122:123], v[112:113], v[78:79]
	v_mul_f64 v[112:113], v[126:127], -0.5
	v_fma_f64 v[148:149], v[106:107], s[4:5], v[148:149]
	v_mul_f64 v[106:107], v[116:117], -0.5
	v_fma_f64 v[144:145], v[108:109], s[6:7], v[144:145]
	v_add_f64 v[0:1], v[0:1], v[4:5]
	v_fma_f64 v[142:143], v[160:161], 0.5, v[142:143]
	v_fma_f64 v[146:147], v[82:83], 0.5, v[146:147]
	v_add_f64 v[140:141], v[140:141], v[197:198]
	v_add_f64 v[170:171], v[86:87], v[199:200]
	;; [unrolled: 1-line block ×5, first 2 shown]
	v_add_f64 v[66:67], v[66:67], -v[177:178]
	v_fma_f64 v[160:161], v[152:153], s[6:7], v[120:121]
	v_fma_f64 v[152:153], v[152:153], s[4:5], v[120:121]
	v_add_f64 v[78:79], v[94:95], v[98:99]
	v_add_f64 v[82:83], v[130:131], v[156:157]
	v_fma_f64 v[177:178], v[92:93], s[4:5], v[84:85]
	v_fma_f64 v[179:180], v[92:93], s[6:7], v[84:85]
	v_fma_f64 v[183:184], v[110:111], 0.5, v[104:105]
	v_fma_f64 v[191:192], v[118:119], 0.5, v[124:125]
	v_add_f64 v[90:91], v[94:95], -v[98:99]
	v_fma_f64 v[187:188], v[116:117], s[6:7], v[112:113]
	v_add_f64 v[94:95], v[130:131], -v[156:157]
	v_fma_f64 v[156:157], v[126:127], s[4:5], v[106:107]
	v_add_f64 v[80:81], v[100:101], v[102:103]
	v_add_f64 v[86:87], v[96:97], v[2:3]
	;; [unrolled: 1-line block ×6, first 2 shown]
	v_add_f64 v[92:93], v[100:101], -v[102:103]
	v_add_f64 v[100:101], v[114:115], -v[158:159]
	;; [unrolled: 1-line block ×8, first 2 shown]
	v_add_f64 v[102:103], v[132:133], v[122:123]
	v_add_f64 v[122:123], v[138:139], -v[144:145]
	v_add_f64 v[124:125], v[128:129], -v[148:149]
	v_add_f64 v[104:105], v[0:1], v[134:135]
	v_add_f64 v[126:127], v[140:141], v[181:182]
	v_add_f64 v[128:129], v[170:171], v[189:190]
	v_add_f64 v[106:107], v[136:137], v[142:143]
	v_add_f64 v[108:109], v[175:176], v[146:147]
	v_add_f64 v[130:131], v[160:161], v[183:184]
	v_add_f64 v[132:133], v[177:178], v[191:192]
	v_add_f64 v[134:135], v[152:153], v[187:188]
	v_add_f64 v[136:137], v[179:180], v[156:157]
	v_add_f64 v[138:139], v[140:141], -v[181:182]
	v_add_f64 v[140:141], v[170:171], -v[189:190]
	;; [unrolled: 1-line block ×6, first 2 shown]
	s_waitcnt_vscnt null, 0x0
	s_barrier
	buffer_gl0_inv
	ds_write_b128 v209, v[6:9]
	ds_write_b128 v209, v[30:33] offset:960
	ds_write_b128 v209, v[38:41] offset:1920
	;; [unrolled: 1-line block ×7, first 2 shown]
	v_lshl_add_u32 v6, v163, 4, 0
	v_lshl_add_u32 v7, v167, 4, 0
	v_add_co_u32 v4, s0, s12, v172
	ds_write_b128 v209, v[54:57] offset:7680
	ds_write_b128 v209, v[18:21] offset:8640
	;; [unrolled: 1-line block ×12, first 2 shown]
	v_lshl_add_u32 v6, v186, 4, 0
	v_add_co_ci_u32_e64 v5, null, s13, 0, s0
	v_lshl_add_u32 v8, v185, 4, 0
	ds_write_b128 v7, v[86:89] offset:19200
	ds_write_b128 v7, v[90:93] offset:20160
	;; [unrolled: 1-line block ×15, first 2 shown]
	v_add_co_u32 v6, s0, 0x1000, v4
	v_add_co_ci_u32_e64 v7, s0, 0, v5, s0
	v_add_co_u32 v4, s0, 0x15e0, v4
	v_add_co_ci_u32_e64 v5, s0, 0, v5, s0
	ds_write_b128 v8, v[0:3] offset:33600
	s_waitcnt lgkmcnt(0)
	s_barrier
	buffer_gl0_inv
	s_clause 0x4
	global_load_dwordx4 v[0:3], v[6:7], off offset:1504
	global_load_dwordx4 v[32:35], v[4:5], off offset:16
	global_load_dwordx4 v[28:31], v[4:5], off offset:32
	global_load_dwordx4 v[12:15], v[4:5], off offset:48
	global_load_dwordx4 v[16:19], v[6:7], off offset:1568
	s_clause 0x1
	buffer_load_dword v6, off, s[28:31], 0
	buffer_load_dword v7, off, s[28:31], 0 offset:4
	v_mov_b32_e32 v39, 0
	v_mul_i32_i24_e32 v38, 5, v166
	v_mul_u32_u24_e32 v58, 5, v174
	v_lshl_add_u32 v163, v166, 4, 0
	v_lshlrev_b64 v[8:9], 4, v[38:39]
	v_add_co_u32 v8, s0, s12, v8
	v_add_co_ci_u32_e64 v9, s0, s13, v9, s0
	v_add_co_u32 v4, s0, 0x1000, v8
	v_add_co_ci_u32_e64 v5, s0, 0, v9, s0
	s_waitcnt vmcnt(1)
	v_mul_i32_i24_e32 v38, 5, v6
	v_add_co_u32 v6, s0, 0x15e0, v8
	s_waitcnt vmcnt(0)
	v_add_co_ci_u32_e64 v7, s0, 0, v9, s0
	v_lshlrev_b64 v[8:9], 4, v[38:39]
	v_mov_b32_e32 v38, v173
	s_clause 0x3
	global_load_dwordx4 v[52:55], v[4:5], off offset:1504
	global_load_dwordx4 v[48:51], v[6:7], off offset:16
	;; [unrolled: 1-line block ×4, first 2 shown]
	v_add_co_u32 v36, s0, s12, v8
	v_add_co_ci_u32_e64 v37, s0, s13, v9, s0
	v_add_co_u32 v62, s0, 0x1000, v36
	v_add_co_ci_u32_e64 v63, s0, 0, v37, s0
	s_clause 0x1
	global_load_dwordx4 v[8:11], v[4:5], off offset:1568
	global_load_dwordx4 v[4:7], v[62:63], off offset:1504
	buffer_store_dword v38, off, s[28:31], 0 offset:8 ; 4-byte Folded Spill
	buffer_store_dword v39, off, s[28:31], 0 offset:12 ; 4-byte Folded Spill
	v_mul_i32_i24_e32 v38, 5, v173
	v_add_co_u32 v36, s0, 0x15e0, v36
	v_add_co_ci_u32_e64 v37, s0, 0, v37, s0
	s_clause 0x1
	global_load_dwordx4 v[44:47], v[36:37], off offset:16
	global_load_dwordx4 v[40:43], v[36:37], off offset:32
	v_mov_b32_e32 v167, v39
	v_lshlrev_b64 v[38:39], 4, v[38:39]
	v_add_co_u32 v56, s0, s12, v38
	v_add_co_ci_u32_e64 v57, s0, s13, v39, s0
	global_load_dwordx4 v[36:39], v[36:37], off offset:48
	v_add_co_u32 v78, s0, 0x1000, v56
	v_add_co_ci_u32_e64 v79, s0, 0, v57, s0
	v_add_co_u32 v74, s0, 0x15e0, v56
	v_add_co_ci_u32_e64 v75, s0, 0, v57, s0
	v_lshlrev_b32_e32 v56, 4, v58
	s_clause 0x4
	global_load_dwordx4 v[58:61], v[78:79], off offset:1504
	global_load_dwordx4 v[62:65], v[62:63], off offset:1568
	global_load_dwordx4 v[66:69], v[74:75], off offset:16
	global_load_dwordx4 v[70:73], v[74:75], off offset:32
	global_load_dwordx4 v[74:77], v[74:75], off offset:48
	v_add_co_u32 v56, s0, s12, v56
	v_add_co_ci_u32_e64 v57, null, s13, 0, s0
	v_add_co_u32 v82, s0, 0x1000, v56
	v_add_co_ci_u32_e64 v83, s0, 0, v57, s0
	v_add_co_u32 v84, s0, 0x15e0, v56
	v_add_co_ci_u32_e64 v85, s0, 0, v57, s0
	s_clause 0x5
	global_load_dwordx4 v[78:81], v[78:79], off offset:1568
	global_load_dwordx4 v[98:101], v[82:83], off offset:1504
	;; [unrolled: 1-line block ×6, first 2 shown]
	v_add_co_u32 v82, s0, 0x2800, v56
	v_add_co_ci_u32_e64 v83, s0, 0, v57, s0
	v_add_co_u32 v84, s0, 0x28a0, v56
	v_add_co_ci_u32_e64 v85, s0, 0, v57, s0
	s_clause 0x4
	global_load_dwordx4 v[118:121], v[82:83], off offset:160
	global_load_dwordx4 v[122:125], v[84:85], off offset:16
	;; [unrolled: 1-line block ×5, first 2 shown]
	ds_read_b128 v[82:85], v209 offset:5760
	ds_read_b128 v[86:89], v209 offset:11520
	;; [unrolled: 1-line block ×24, first 2 shown]
	s_waitcnt lgkmcnt(23)
	v_mul_f64 v[170:171], v[84:85], v[2:3]
	v_mul_f64 v[2:3], v[82:83], v[2:3]
	s_waitcnt lgkmcnt(22)
	v_mul_f64 v[207:208], v[88:89], v[34:35]
	s_waitcnt lgkmcnt(21)
	v_mul_f64 v[210:211], v[92:93], v[30:31]
	v_mul_f64 v[30:31], v[90:91], v[30:31]
	;; [unrolled: 1-line block ×3, first 2 shown]
	s_waitcnt lgkmcnt(17)
	v_mul_f64 v[241:242], v[148:149], v[14:15]
	v_mul_f64 v[14:15], v[146:147], v[14:15]
	s_waitcnt lgkmcnt(15)
	v_mul_f64 v[243:244], v[156:157], v[18:19]
	v_mul_f64 v[18:19], v[154:155], v[18:19]
	v_fma_f64 v[170:171], v[82:83], v[0:1], -v[170:171]
	v_fma_f64 v[245:246], v[84:85], v[0:1], v[2:3]
	s_waitcnt vmcnt(24)
	v_mul_f64 v[0:1], v[96:97], v[54:55]
	v_mul_f64 v[2:3], v[94:95], v[54:55]
	s_waitcnt vmcnt(23)
	v_mul_f64 v[54:55], v[140:141], v[50:51]
	v_fma_f64 v[207:208], v[86:87], v[32:33], -v[207:208]
	v_mul_f64 v[50:51], v[138:139], v[50:51]
	v_fma_f64 v[210:211], v[90:91], v[28:29], -v[210:211]
	v_fma_f64 v[247:248], v[92:93], v[28:29], v[30:31]
	s_waitcnt vmcnt(22)
	v_mul_f64 v[82:83], v[144:145], v[26:27]
	v_mul_f64 v[84:85], v[142:143], v[26:27]
	s_waitcnt vmcnt(21)
	v_mul_f64 v[86:87], v[152:153], v[22:23]
	v_fma_f64 v[26:27], v[146:147], v[12:13], -v[241:242]
	v_fma_f64 v[28:29], v[148:149], v[12:13], v[14:15]
	v_mul_f64 v[14:15], v[150:151], v[22:23]
	v_fma_f64 v[12:13], v[156:157], v[16:17], v[18:19]
	s_waitcnt vmcnt(19) lgkmcnt(13)
	v_mul_f64 v[18:19], v[177:178], v[6:7]
	v_fma_f64 v[34:35], v[88:89], v[32:33], v[34:35]
	v_fma_f64 v[22:23], v[154:155], v[16:17], -v[243:244]
	v_mul_f64 v[16:17], v[160:161], v[10:11]
	v_mul_f64 v[10:11], v[158:159], v[10:11]
	s_waitcnt vmcnt(17) lgkmcnt(9)
	v_mul_f64 v[88:89], v[193:194], v[42:43]
	v_mul_f64 v[42:43], v[191:192], v[42:43]
	ds_read_b128 v[30:33], v209 offset:21120
	ds_read_b128 v[237:240], v209 offset:22080
	v_fma_f64 v[250:251], v[94:95], v[52:53], -v[0:1]
	v_fma_f64 v[252:253], v[96:97], v[52:53], v[2:3]
	v_mul_f64 v[52:53], v[175:176], v[6:7]
	v_fma_f64 v[254:255], v[138:139], v[48:49], -v[54:55]
	v_fma_f64 v[172:173], v[140:141], v[48:49], v[50:51]
	v_mul_f64 v[50:51], v[185:186], v[46:47]
	v_mul_f64 v[54:55], v[183:184], v[46:47]
	v_fma_f64 v[56:57], v[142:143], v[24:25], -v[82:83]
	v_fma_f64 v[24:25], v[144:145], v[24:25], v[84:85]
	v_fma_f64 v[150:151], v[150:151], v[20:21], -v[86:87]
	ds_read_b128 v[146:149], v209 offset:26880
	ds_read_b128 v[154:157], v209 offset:27840
	;; [unrolled: 1-line block ×3, first 2 shown]
	ds_read_b128 v[241:244], v209
	v_fma_f64 v[20:21], v[152:153], v[20:21], v[14:15]
	ds_read_b128 v[46:49], v209 offset:32640
	ds_read_b128 v[142:145], v163
	v_fma_f64 v[152:153], v[175:176], v[4:5], -v[18:19]
	v_fma_f64 v[16:17], v[158:159], v[8:9], -v[16:17]
	v_fma_f64 v[10:11], v[160:161], v[8:9], v[10:11]
	v_fma_f64 v[175:176], v[191:192], v[40:41], -v[88:89]
	ds_read_b128 v[6:9], v249
	ds_read_b128 v[0:3], v212
	v_fma_f64 v[4:5], v[177:178], v[4:5], v[52:53]
	v_fma_f64 v[177:178], v[193:194], v[40:41], v[42:43]
	v_fma_f64 v[158:159], v[183:184], v[44:45], -v[50:51]
	v_fma_f64 v[160:161], v[185:186], v[44:45], v[54:55]
	s_waitcnt vmcnt(16) lgkmcnt(17)
	v_mul_f64 v[14:15], v[201:202], v[38:39]
	v_mul_f64 v[38:39], v[199:200], v[38:39]
	s_waitcnt vmcnt(14) lgkmcnt(15)
	v_mul_f64 v[52:53], v[213:214], v[64:65]
	v_mul_f64 v[82:83], v[215:216], v[64:65]
	;; [unrolled: 1-line block ×4, first 2 shown]
	s_waitcnt vmcnt(13)
	v_mul_f64 v[84:85], v[189:190], v[68:69]
	v_mul_f64 v[44:45], v[187:188], v[68:69]
	s_waitcnt vmcnt(12)
	v_mul_f64 v[54:55], v[195:196], v[72:73]
	s_waitcnt vmcnt(11)
	v_mul_f64 v[68:69], v[205:206], v[76:77]
	v_mul_f64 v[40:41], v[203:204], v[76:77]
	v_mul_f64 v[50:51], v[197:198], v[72:73]
	v_fma_f64 v[183:184], v[199:200], v[36:37], -v[14:15]
	v_fma_f64 v[185:186], v[201:202], v[36:37], v[38:39]
	s_waitcnt vmcnt(9) lgkmcnt(13)
	v_mul_f64 v[76:77], v[223:224], v[100:101]
	v_mul_f64 v[36:37], v[221:222], v[100:101]
	s_waitcnt vmcnt(8) lgkmcnt(11)
	v_mul_f64 v[38:39], v[231:232], v[104:105]
	v_mul_f64 v[100:101], v[229:230], v[104:105]
	;; [unrolled: 3-line block ×3, first 2 shown]
	v_mul_f64 v[72:73], v[217:218], v[80:81]
	v_fma_f64 v[14:15], v[215:216], v[62:63], v[52:53]
	v_mul_f64 v[52:53], v[30:31], v[108:109]
	v_fma_f64 v[88:89], v[179:180], v[58:59], -v[64:65]
	v_fma_f64 v[86:87], v[181:182], v[58:59], v[60:61]
	s_waitcnt vmcnt(5) lgkmcnt(3)
	v_mul_f64 v[64:65], v[46:47], v[116:117]
	s_waitcnt vmcnt(3)
	v_mul_f64 v[179:180], v[235:236], v[124:125]
	v_fma_f64 v[90:91], v[187:188], v[66:67], -v[84:85]
	v_fma_f64 v[96:97], v[189:190], v[66:67], v[44:45]
	v_mul_f64 v[124:125], v[233:234], v[124:125]
	v_fma_f64 v[92:93], v[197:198], v[70:71], v[54:55]
	v_fma_f64 v[18:19], v[213:214], v[62:63], -v[82:83]
	v_mul_f64 v[62:63], v[148:149], v[112:113]
	v_mul_f64 v[108:109], v[146:147], v[112:113]
	;; [unrolled: 1-line block ×4, first 2 shown]
	v_fma_f64 v[66:67], v[221:222], v[98:99], -v[76:77]
	v_fma_f64 v[54:55], v[223:224], v[98:99], v[36:37]
	v_add_f64 v[98:99], v[24:25], v[10:11]
	v_mul_f64 v[120:121], v[225:226], v[120:121]
	v_fma_f64 v[76:77], v[30:31], v[106:107], -v[104:105]
	v_add_f64 v[30:31], v[247:248], v[12:13]
	s_waitcnt vmcnt(2)
	v_mul_f64 v[181:182], v[239:240], v[128:129]
	v_mul_f64 v[128:129], v[237:238], v[128:129]
	v_fma_f64 v[58:59], v[32:33], v[106:107], v[52:53]
	v_add_f64 v[32:33], v[210:211], v[22:23]
	s_waitcnt vmcnt(1)
	v_mul_f64 v[187:188], v[156:157], v[132:133]
	v_fma_f64 v[94:95], v[195:196], v[70:71], -v[50:51]
	v_mul_f64 v[70:71], v[154:155], v[132:133]
	s_waitcnt vmcnt(0)
	v_mul_f64 v[132:133], v[140:141], v[136:137]
	v_mul_f64 v[136:137], v[138:139], v[136:137]
	v_fma_f64 v[84:85], v[203:204], v[74:75], -v[68:69]
	v_fma_f64 v[82:83], v[205:206], v[74:75], v[40:41]
	v_fma_f64 v[68:69], v[229:230], v[102:103], -v[38:39]
	v_fma_f64 v[74:75], v[231:232], v[102:103], v[100:101]
	v_fma_f64 v[38:39], v[48:49], v[114:115], v[64:65]
	v_fma_f64 v[48:49], v[233:234], v[122:123], -v[179:180]
	v_fma_f64 v[52:53], v[235:236], v[122:123], v[124:125]
	v_add_f64 v[100:101], v[247:248], -v[12:13]
	v_add_f64 v[102:103], v[56:57], v[16:17]
	v_add_f64 v[104:105], v[210:211], -v[22:23]
	v_add_f64 v[122:123], v[56:57], -v[16:17]
	v_fma_f64 v[98:99], v[98:99], -0.5, v[252:253]
	v_fma_f64 v[30:31], v[30:31], -0.5, v[245:246]
	v_fma_f64 v[80:81], v[217:218], v[78:79], -v[42:43]
	v_fma_f64 v[78:79], v[219:220], v[78:79], v[72:73]
	v_fma_f64 v[60:61], v[146:147], v[110:111], -v[62:63]
	v_fma_f64 v[32:33], v[32:33], -0.5, v[170:171]
	v_fma_f64 v[44:45], v[148:149], v[110:111], v[108:109]
	v_fma_f64 v[36:37], v[46:47], v[114:115], -v[112:113]
	v_fma_f64 v[46:47], v[225:226], v[118:119], -v[116:117]
	v_fma_f64 v[40:41], v[227:228], v[118:119], v[120:121]
	v_fma_f64 v[50:51], v[237:238], v[126:127], -v[181:182]
	v_fma_f64 v[42:43], v[239:240], v[126:127], v[128:129]
	;; [unrolled: 2-line block ×4, first 2 shown]
	v_add_f64 v[106:107], v[207:208], v[26:27]
	v_add_f64 v[108:109], v[34:35], v[28:29]
	;; [unrolled: 1-line block ×3, first 2 shown]
	v_add_f64 v[112:113], v[34:35], -v[28:29]
	v_add_f64 v[34:35], v[243:244], v[34:35]
	v_add_f64 v[116:117], v[170:171], v[210:211]
	;; [unrolled: 1-line block ×3, first 2 shown]
	s_waitcnt lgkmcnt(2)
	v_add_f64 v[120:121], v[142:143], v[254:255]
	v_add_f64 v[126:127], v[24:25], -v[10:11]
	v_add_f64 v[128:129], v[177:178], v[14:15]
	v_add_f64 v[132:133], v[175:176], v[18:19]
	v_add_f64 v[136:137], v[144:145], v[172:173]
	v_fma_f64 v[102:103], v[102:103], -0.5, v[250:251]
	v_fma_f64 v[154:155], v[104:105], s[4:5], v[30:31]
	v_fma_f64 v[156:157], v[100:101], s[4:5], v[32:33]
	;; [unrolled: 1-line block ×4, first 2 shown]
	v_add_f64 v[104:105], v[4:5], v[177:178]
	v_add_f64 v[170:171], v[177:178], -v[14:15]
	v_fma_f64 v[177:178], v[122:123], s[4:5], v[98:99]
	v_add_f64 v[114:115], v[207:208], -v[26:27]
	v_add_f64 v[124:125], v[254:255], v[150:151]
	v_add_f64 v[56:57], v[250:251], v[56:57]
	;; [unrolled: 1-line block ×3, first 2 shown]
	v_add_f64 v[134:135], v[172:173], -v[20:21]
	v_add_f64 v[146:147], v[175:176], -v[18:19]
	v_fma_f64 v[106:107], v[106:107], -0.5, v[241:242]
	v_fma_f64 v[108:109], v[108:109], -0.5, v[243:244]
	v_add_f64 v[26:27], v[110:111], v[26:27]
	v_add_f64 v[28:29], v[34:35], v[28:29]
	;; [unrolled: 1-line block ×3, first 2 shown]
	v_fma_f64 v[34:35], v[128:129], -0.5, v[4:5]
	v_fma_f64 v[4:5], v[132:133], -0.5, v[152:153]
	v_add_f64 v[12:13], v[118:119], v[12:13]
	v_fma_f64 v[110:111], v[126:127], s[4:5], v[102:103]
	v_fma_f64 v[102:103], v[126:127], s[6:7], v[102:103]
	v_mul_f64 v[116:117], v[154:155], s[6:7]
	v_mul_f64 v[126:127], v[32:33], s[4:5]
	v_mul_f64 v[128:129], v[30:31], -0.5
	v_add_f64 v[118:119], v[120:121], v[150:151]
	v_add_f64 v[120:121], v[136:137], v[20:21]
	v_mul_f64 v[20:21], v[177:178], s[6:7]
	v_add_f64 v[140:141], v[158:159], v[183:184]
	v_fma_f64 v[98:99], v[122:123], s[6:7], v[98:99]
	v_mul_f64 v[122:123], v[156:157], -0.5
	v_add_f64 v[24:25], v[252:253], v[24:25]
	v_add_f64 v[138:139], v[254:255], -v[150:151]
	v_add_f64 v[148:149], v[152:153], v[175:176]
	v_add_f64 v[100:101], v[160:161], v[185:186]
	s_waitcnt lgkmcnt(1)
	v_add_f64 v[175:176], v[8:9], v[160:161]
	v_fma_f64 v[124:125], v[124:125], -0.5, v[142:143]
	v_fma_f64 v[130:131], v[130:131], -0.5, v[144:145]
	v_add_f64 v[56:57], v[56:57], v[16:17]
	v_fma_f64 v[16:17], v[112:113], s[6:7], v[106:107]
	v_fma_f64 v[106:107], v[112:113], s[4:5], v[106:107]
	;; [unrolled: 1-line block ×6, first 2 shown]
	v_mul_f64 v[142:143], v[110:111], -0.5
	v_mul_f64 v[144:145], v[102:103], s[4:5]
	v_fma_f64 v[116:117], v[32:33], 0.5, v[116:117]
	v_fma_f64 v[126:127], v[154:155], 0.5, v[126:127]
	v_fma_f64 v[128:129], v[156:157], s[4:5], v[128:129]
	v_fma_f64 v[156:157], v[102:103], 0.5, v[20:21]
	v_fma_f64 v[102:103], v[146:147], s[6:7], v[34:35]
	v_add_f64 v[172:173], v[6:7], v[158:159]
	v_fma_f64 v[132:133], v[140:141], -0.5, v[6:7]
	v_fma_f64 v[140:141], v[170:171], s[6:7], v[4:5]
	v_fma_f64 v[122:123], v[30:31], s[6:7], v[122:123]
	v_add_f64 v[160:161], v[160:161], -v[185:186]
	v_mul_f64 v[150:151], v[98:99], -0.5
	v_fma_f64 v[100:101], v[100:101], -0.5, v[8:9]
	v_add_f64 v[152:153], v[24:25], v[10:11]
	v_add_f64 v[8:9], v[26:27], v[22:23]
	v_fma_f64 v[154:155], v[134:135], s[6:7], v[124:125]
	v_add_f64 v[4:5], v[26:27], -v[22:23]
	v_fma_f64 v[124:125], v[134:135], s[4:5], v[124:125]
	v_fma_f64 v[134:135], v[138:139], s[4:5], v[130:131]
	;; [unrolled: 1-line block ×3, first 2 shown]
	v_mul_f64 v[138:139], v[114:115], s[6:7]
	v_mul_f64 v[146:147], v[136:137], -0.5
	v_fma_f64 v[142:143], v[98:99], s[6:7], v[142:143]
	v_add_f64 v[32:33], v[16:17], v[116:117]
	v_add_f64 v[34:35], v[112:113], v[126:127]
	v_add_f64 v[30:31], v[108:109], v[128:129]
	v_add_f64 v[24:25], v[16:17], -v[116:117]
	v_add_f64 v[26:27], v[112:113], -v[126:127]
	;; [unrolled: 1-line block ×3, first 2 shown]
	v_mul_f64 v[108:109], v[102:103], -0.5
	v_add_f64 v[126:127], v[175:176], v[185:186]
	v_add_f64 v[112:113], v[94:95], v[80:81]
	;; [unrolled: 1-line block ×6, first 2 shown]
	v_add_f64 v[6:7], v[28:29], -v[12:13]
	v_mul_f64 v[170:171], v[140:141], s[4:5]
	v_add_f64 v[28:29], v[106:107], v[122:123]
	v_add_f64 v[20:21], v[106:107], -v[122:123]
	v_add_f64 v[122:123], v[172:173], v[183:184]
	v_add_f64 v[158:159], v[158:159], -v[183:184]
	v_fma_f64 v[144:145], v[177:178], 0.5, v[144:145]
	v_fma_f64 v[150:151], v[110:111], s[4:5], v[150:151]
	v_add_f64 v[16:17], v[118:119], v[56:57]
	v_add_f64 v[12:13], v[154:155], v[156:157]
	v_fma_f64 v[138:139], v[140:141], 0.5, v[138:139]
	v_fma_f64 v[140:141], v[160:161], s[6:7], v[132:133]
	v_add_f64 v[98:99], v[124:125], v[142:143]
	v_add_f64 v[18:19], v[120:121], v[152:153]
	v_fma_f64 v[146:147], v[102:103], s[6:7], v[146:147]
	v_add_f64 v[172:173], v[90:91], v[84:85]
	v_add_f64 v[175:176], v[96:97], v[82:83]
	v_add_f64 v[102:103], v[118:119], -v[56:57]
	v_add_f64 v[106:107], v[154:155], -v[156:157]
	;; [unrolled: 1-line block ×3, first 2 shown]
	v_fma_f64 v[56:57], v[136:137], s[4:5], v[108:109]
	v_add_f64 v[104:105], v[120:121], -v[152:153]
	v_fma_f64 v[136:137], v[112:113], -0.5, v[88:89]
	v_fma_f64 v[142:143], v[116:117], -0.5, v[86:87]
	v_add_f64 v[152:153], v[94:95], -v[80:81]
	v_add_f64 v[154:155], v[92:93], -v[78:79]
	v_add_f64 v[116:117], v[126:127], v[148:149]
	v_add_f64 v[124:125], v[126:127], -v[148:149]
	v_add_f64 v[126:127], v[58:59], v[38:39]
	v_fma_f64 v[170:171], v[114:115], 0.5, v[170:171]
	v_add_f64 v[114:115], v[122:123], v[128:129]
	v_add_f64 v[122:123], v[122:123], -v[128:129]
	v_add_f64 v[128:129], v[76:77], v[36:37]
	v_fma_f64 v[132:133], v[160:161], s[4:5], v[132:133]
	v_fma_f64 v[160:161], v[158:159], s[4:5], v[100:101]
	;; [unrolled: 1-line block ×3, first 2 shown]
	v_add_f64 v[14:15], v[134:135], v[144:145]
	v_add_f64 v[100:101], v[130:131], v[150:151]
	v_add_f64 v[108:109], v[134:135], -v[144:145]
	v_add_f64 v[112:113], v[130:131], -v[150:151]
	v_add_f64 v[118:119], v[140:141], v[138:139]
	s_waitcnt lgkmcnt(0)
	v_add_f64 v[130:131], v[0:1], v[90:91]
	v_fma_f64 v[134:135], v[172:173], -0.5, v[0:1]
	v_fma_f64 v[144:145], v[175:176], -0.5, v[2:3]
	v_add_f64 v[148:149], v[2:3], v[96:97]
	v_add_f64 v[150:151], v[96:97], -v[82:83]
	v_add_f64 v[172:173], v[90:91], -v[84:85]
	v_add_f64 v[175:176], v[86:87], v[92:93]
	v_fma_f64 v[177:178], v[152:153], s[4:5], v[142:143]
	v_fma_f64 v[179:180], v[154:155], s[4:5], v[136:137]
	;; [unrolled: 1-line block ×3, first 2 shown]
	v_add_f64 v[154:155], v[50:51], v[64:65]
	v_add_f64 v[181:182], v[42:43], v[70:71]
	v_add_f64 v[86:87], v[140:141], -v[138:139]
	v_fma_f64 v[138:139], v[152:153], s[6:7], v[142:143]
	v_fma_f64 v[126:127], v[126:127], -0.5, v[54:55]
	v_add_f64 v[142:143], v[76:77], -v[36:37]
	ds_read_b128 v[90:93], v209 offset:3840
	v_add_f64 v[156:157], v[88:89], v[94:95]
	v_fma_f64 v[128:129], v[128:129], -0.5, v[66:67]
	v_add_f64 v[152:153], v[58:59], -v[38:39]
	v_add_f64 v[0:1], v[132:133], v[146:147]
	v_add_f64 v[120:121], v[160:161], v[170:171]
	;; [unrolled: 1-line block ×3, first 2 shown]
	v_add_f64 v[88:89], v[160:161], -v[170:171]
	v_add_f64 v[140:141], v[68:69], v[60:61]
	v_add_f64 v[160:161], v[74:75], v[44:45]
	v_add_f64 v[94:95], v[132:133], -v[146:147]
	v_add_f64 v[96:97], v[158:159], -v[56:57]
	v_add_f64 v[56:57], v[130:131], v[84:85]
	v_fma_f64 v[130:131], v[150:151], s[6:7], v[134:135]
	v_fma_f64 v[132:133], v[150:151], s[4:5], v[134:135]
	v_add_f64 v[134:135], v[148:149], v[82:83]
	ds_read_b128 v[82:85], v209 offset:4800
	v_fma_f64 v[146:147], v[172:173], s[4:5], v[144:145]
	v_mul_f64 v[148:149], v[177:178], s[6:7]
	v_mul_f64 v[150:151], v[179:180], -0.5
	v_mul_f64 v[158:159], v[136:137], s[4:5]
	v_fma_f64 v[154:155], v[154:155], -0.5, v[46:47]
	v_fma_f64 v[170:171], v[181:182], -0.5, v[40:41]
	v_add_f64 v[181:182], v[50:51], -v[64:65]
	v_add_f64 v[183:184], v[42:43], -v[70:71]
	s_waitcnt lgkmcnt(1)
	v_add_f64 v[187:188], v[90:91], v[68:69]
	v_fma_f64 v[144:145], v[172:173], s[6:7], v[144:145]
	v_fma_f64 v[172:173], v[142:143], s[4:5], v[126:127]
	v_add_f64 v[80:81], v[156:157], v[80:81]
	v_fma_f64 v[156:157], v[152:153], s[4:5], v[128:129]
	v_fma_f64 v[128:129], v[152:153], s[6:7], v[128:129]
	v_mul_f64 v[185:186], v[138:139], -0.5
	v_fma_f64 v[126:127], v[142:143], s[6:7], v[126:127]
	v_fma_f64 v[90:91], v[140:141], -0.5, v[90:91]
	v_add_f64 v[140:141], v[48:49], v[72:73]
	v_fma_f64 v[142:143], v[160:161], -0.5, v[92:93]
	v_add_f64 v[152:153], v[74:75], -v[44:45]
	v_add_f64 v[160:161], v[52:53], v[62:63]
	v_add_f64 v[74:75], v[92:93], v[74:75]
	;; [unrolled: 1-line block ×3, first 2 shown]
	v_add_f64 v[68:69], v[68:69], -v[60:61]
	v_fma_f64 v[76:77], v[136:137], 0.5, v[148:149]
	v_fma_f64 v[92:93], v[138:139], s[6:7], v[150:151]
	v_fma_f64 v[148:149], v[177:178], 0.5, v[158:159]
	v_add_f64 v[54:55], v[54:55], v[58:59]
	v_fma_f64 v[136:137], v[181:182], s[4:5], v[170:171]
	v_fma_f64 v[138:139], v[183:184], s[4:5], v[154:155]
	v_add_f64 v[158:159], v[187:188], v[60:61]
	v_fma_f64 v[60:61], v[183:184], s[6:7], v[154:155]
	v_mul_f64 v[58:59], v[172:173], s[6:7]
	v_fma_f64 v[170:171], v[181:182], s[6:7], v[170:171]
	v_mul_f64 v[154:155], v[156:157], -0.5
	v_mul_f64 v[177:178], v[128:129], s[4:5]
	v_fma_f64 v[150:151], v[179:180], s[4:5], v[185:186]
	v_mul_f64 v[179:180], v[126:127], -0.5
	v_add_f64 v[78:79], v[175:176], v[78:79]
	s_waitcnt lgkmcnt(0)
	v_add_f64 v[175:176], v[82:83], v[48:49]
	v_fma_f64 v[82:83], v[140:141], -0.5, v[82:83]
	v_add_f64 v[140:141], v[52:53], -v[62:63]
	v_fma_f64 v[181:182], v[152:153], s[6:7], v[90:91]
	v_fma_f64 v[160:161], v[160:161], -0.5, v[84:85]
	v_add_f64 v[52:53], v[84:85], v[52:53]
	v_add_f64 v[48:49], v[48:49], -v[72:73]
	v_fma_f64 v[84:85], v[152:153], s[4:5], v[90:91]
	v_add_f64 v[46:47], v[46:47], v[50:51]
	v_add_f64 v[90:91], v[74:75], v[44:45]
	;; [unrolled: 1-line block ×3, first 2 shown]
	v_mul_f64 v[44:45], v[136:137], s[6:7]
	v_mul_f64 v[50:51], v[138:139], -0.5
	v_add_f64 v[183:184], v[54:55], v[38:39]
	v_add_f64 v[54:55], v[40:41], v[42:43]
	v_fma_f64 v[128:129], v[128:129], 0.5, v[58:59]
	v_mul_f64 v[58:59], v[60:61], s[4:5]
	v_mul_f64 v[66:67], v[170:171], -0.5
	v_fma_f64 v[152:153], v[68:69], s[4:5], v[142:143]
	v_fma_f64 v[126:127], v[126:127], s[6:7], v[154:155]
	v_fma_f64 v[154:155], v[172:173], 0.5, v[177:178]
	v_fma_f64 v[142:143], v[68:69], s[6:7], v[142:143]
	v_fma_f64 v[156:157], v[156:157], s[4:5], v[179:180]
	v_add_f64 v[172:173], v[175:176], v[72:73]
	v_fma_f64 v[175:176], v[140:141], s[6:7], v[82:83]
	v_fma_f64 v[140:141], v[140:141], s[4:5], v[82:83]
	v_add_f64 v[36:37], v[56:57], v[80:81]
	v_add_f64 v[177:178], v[52:53], v[62:63]
	v_fma_f64 v[179:180], v[48:49], s[4:5], v[160:161]
	v_fma_f64 v[160:161], v[48:49], s[6:7], v[160:161]
	v_add_f64 v[185:186], v[46:47], v[64:65]
	v_add_f64 v[48:49], v[56:57], -v[80:81]
	v_add_f64 v[38:39], v[134:135], v[78:79]
	v_fma_f64 v[187:188], v[60:61], 0.5, v[44:45]
	v_fma_f64 v[170:171], v[170:171], s[6:7], v[50:51]
	v_add_f64 v[40:41], v[130:131], v[76:77]
	v_add_f64 v[56:57], v[54:55], v[70:71]
	;; [unrolled: 1-line block ×3, first 2 shown]
	v_fma_f64 v[189:190], v[136:137], 0.5, v[58:59]
	v_fma_f64 v[191:192], v[138:139], s[4:5], v[66:67]
	v_add_f64 v[44:45], v[132:133], v[92:93]
	v_add_f64 v[46:47], v[144:145], v[150:151]
	v_add_f64 v[50:51], v[134:135], -v[78:79]
	v_add_f64 v[52:53], v[130:131], -v[76:77]
	;; [unrolled: 1-line block ×5, first 2 shown]
	v_add_f64 v[62:63], v[158:159], v[74:75]
	v_add_f64 v[64:65], v[90:91], v[183:184]
	;; [unrolled: 1-line block ×6, first 2 shown]
	v_add_f64 v[74:75], v[158:159], -v[74:75]
	v_add_f64 v[78:79], v[181:182], -v[128:129]
	;; [unrolled: 1-line block ×6, first 2 shown]
	v_add_f64 v[90:91], v[172:173], v[185:186]
	v_add_f64 v[126:127], v[175:176], v[187:188]
	v_add_f64 v[130:131], v[140:141], v[170:171]
	v_add_f64 v[92:93], v[177:178], v[56:57]
	v_add_f64 v[128:129], v[179:180], v[189:190]
	v_add_f64 v[132:133], v[160:161], v[191:192]
	v_add_f64 v[134:135], v[172:173], -v[185:186]
	v_add_f64 v[138:139], v[175:176], -v[187:188]
	v_add_f64 v[142:143], v[140:141], -v[170:171]
	v_add_f64 v[136:137], v[177:178], -v[56:57]
	v_add_f64 v[140:141], v[179:180], -v[189:190]
	v_add_f64 v[144:145], v[160:161], -v[191:192]
	s_waitcnt_vscnt null, 0x0
	s_barrier
	buffer_gl0_inv
	ds_write_b128 v209, v[8:11]
	ds_write_b128 v209, v[32:35] offset:5760
	ds_write_b128 v209, v[28:31] offset:11520
	ds_write_b128 v209, v[4:7] offset:17280
	ds_write_b128 v209, v[24:27] offset:23040
	ds_write_b128 v209, v[20:23] offset:28800
	ds_write_b128 v163, v[16:19]
	ds_write_b128 v163, v[12:15] offset:5760
	ds_write_b128 v163, v[98:101] offset:11520
	ds_write_b128 v163, v[102:105] offset:17280
	ds_write_b128 v163, v[106:109] offset:23040
	ds_write_b128 v163, v[110:113] offset:28800
	;; [unrolled: 6-line block ×4, first 2 shown]
	ds_write_b128 v209, v[62:65] offset:3840
	ds_write_b128 v209, v[66:69] offset:9600
	;; [unrolled: 1-line block ×12, first 2 shown]
	s_waitcnt lgkmcnt(0)
	s_barrier
	buffer_gl0_inv
	ds_read_b128 v[4:7], v209
	v_lshlrev_b32_e32 v0, 4, v162
	v_mov_b32_e32 v27, v163
	s_addc_u32 s4, s13, 0
	s_mov_b32 s5, exec_lo
                                        ; implicit-def: $vgpr2_vgpr3
                                        ; implicit-def: $vgpr8_vgpr9
	v_sub_nc_u32_e32 v10, 0, v0
	v_cmpx_ne_u32_e32 0, v162
	s_xor_b32 s5, exec_lo, s5
	s_cbranch_execz .LBB0_17
; %bb.16:
	v_mov_b32_e32 v163, v167
	v_lshlrev_b64 v[0:1], 4, v[162:163]
	v_add_co_u32 v0, s0, s1, v0
	v_add_co_ci_u32_e64 v1, s0, s4, v1, s0
	global_load_dwordx4 v[11:14], v[0:1], off
	ds_read_b128 v[0:3], v10 offset:34560
	s_waitcnt lgkmcnt(0)
	v_add_f64 v[8:9], v[4:5], -v[0:1]
	v_add_f64 v[15:16], v[6:7], v[2:3]
	v_add_f64 v[2:3], v[6:7], -v[2:3]
	v_add_f64 v[0:1], v[4:5], v[0:1]
	v_mul_f64 v[6:7], v[8:9], 0.5
	v_mul_f64 v[4:5], v[15:16], 0.5
	;; [unrolled: 1-line block ×3, first 2 shown]
	s_waitcnt vmcnt(0)
	v_mul_f64 v[8:9], v[6:7], v[13:14]
	v_fma_f64 v[15:16], v[4:5], v[13:14], v[2:3]
	v_fma_f64 v[2:3], v[4:5], v[13:14], -v[2:3]
	v_fma_f64 v[17:18], v[0:1], 0.5, v[8:9]
	v_fma_f64 v[0:1], v[0:1], 0.5, -v[8:9]
	v_fma_f64 v[8:9], -v[11:12], v[6:7], v[15:16]
	v_fma_f64 v[2:3], -v[11:12], v[6:7], v[2:3]
	v_fma_f64 v[13:14], v[4:5], v[11:12], v[17:18]
	v_fma_f64 v[0:1], -v[4:5], v[11:12], v[0:1]
                                        ; implicit-def: $vgpr4_vgpr5
	ds_write_b64 v209, v[13:14]
.LBB0_17:
	s_andn2_saveexec_b32 s0, s5
	s_cbranch_execz .LBB0_19
; %bb.18:
	v_mov_b32_e32 v15, 0
	s_waitcnt lgkmcnt(0)
	v_add_f64 v[13:14], v[4:5], v[6:7]
	v_add_f64 v[0:1], v[4:5], -v[6:7]
	v_mov_b32_e32 v8, 0
	v_mov_b32_e32 v9, 0
	ds_read_b64 v[11:12], v15 offset:17288
	v_mov_b32_e32 v2, v8
	v_mov_b32_e32 v3, v9
	s_waitcnt lgkmcnt(0)
	v_xor_b32_e32 v12, 0x80000000, v12
	ds_write_b64 v209, v[13:14]
	ds_write_b64 v15, v[11:12] offset:17288
.LBB0_19:
	s_or_b32 exec_lo, exec_lo, s0
	v_mov_b32_e32 v167, 0
	s_waitcnt lgkmcnt(0)
	v_lshlrev_b64 v[4:5], 4, v[166:167]
	v_mov_b32_e32 v175, v167
	v_add_nc_u32_e32 v166, 0x168, v162
	v_add_co_u32 v4, s0, s1, v4
	v_add_co_ci_u32_e64 v5, s0, s4, v5, s0
	global_load_dwordx4 v[4:7], v[4:5], off
	s_clause 0x1
	buffer_load_dword v11, off, s[28:31], 0
	buffer_load_dword v12, off, s[28:31], 0 offset:4
	s_waitcnt vmcnt(0)
	v_mov_b32_e32 v12, v167
	v_lshlrev_b64 v[11:12], 4, v[11:12]
	v_add_co_u32 v11, s0, s1, v11
	v_add_co_ci_u32_e64 v12, s0, s4, v12, s0
	global_load_dwordx4 v[11:14], v[11:12], off
	s_clause 0x1
	buffer_load_dword v15, off, s[28:31], 0 offset:8
	buffer_load_dword v16, off, s[28:31], 0 offset:12
	s_waitcnt vmcnt(0)
	v_mov_b32_e32 v16, v167
	ds_write_b64 v209, v[8:9] offset:8
	ds_write_b128 v10, v[0:3] offset:34560
	v_lshlrev_b64 v[8:9], 4, v[15:16]
	ds_read_b128 v[0:3], v27
	ds_read_b128 v[15:18], v10 offset:33600
	v_add_co_u32 v8, s0, s1, v8
	v_add_co_ci_u32_e64 v9, s0, s4, v9, s0
	global_load_dwordx4 v[19:22], v[8:9], off
	s_waitcnt lgkmcnt(0)
	v_add_f64 v[8:9], v[0:1], -v[15:16]
	v_add_f64 v[23:24], v[2:3], v[17:18]
	v_add_f64 v[2:3], v[2:3], -v[17:18]
	v_add_f64 v[0:1], v[0:1], v[15:16]
	v_mul_f64 v[8:9], v[8:9], 0.5
	v_mul_f64 v[17:18], v[23:24], 0.5
	;; [unrolled: 1-line block ×3, first 2 shown]
	v_mul_f64 v[15:16], v[8:9], v[6:7]
	v_fma_f64 v[23:24], v[17:18], v[6:7], v[2:3]
	v_fma_f64 v[6:7], v[17:18], v[6:7], -v[2:3]
	v_fma_f64 v[25:26], v[0:1], 0.5, v[15:16]
	v_fma_f64 v[15:16], v[0:1], 0.5, -v[15:16]
	v_fma_f64 v[2:3], -v[4:5], v[8:9], v[23:24]
	v_fma_f64 v[6:7], -v[4:5], v[8:9], v[6:7]
	v_lshlrev_b64 v[8:9], 4, v[174:175]
	v_add_co_u32 v8, s0, s1, v8
	v_add_co_ci_u32_e64 v9, s0, s4, v9, s0
	v_fma_f64 v[0:1], v[17:18], v[4:5], v[25:26]
	v_fma_f64 v[4:5], -v[17:18], v[4:5], v[15:16]
	ds_write_b128 v27, v[0:3]
	ds_write_b128 v10, v[4:7] offset:33600
	ds_read_b128 v[0:3], v249
	ds_read_b128 v[4:7], v10 offset:32640
	global_load_dwordx4 v[15:18], v[8:9], off
	s_waitcnt lgkmcnt(0)
	v_add_f64 v[8:9], v[0:1], -v[4:5]
	v_add_f64 v[23:24], v[2:3], v[6:7]
	v_add_f64 v[2:3], v[2:3], -v[6:7]
	v_add_f64 v[0:1], v[0:1], v[4:5]
	v_mul_f64 v[6:7], v[8:9], 0.5
	v_mul_f64 v[8:9], v[23:24], 0.5
	;; [unrolled: 1-line block ×3, first 2 shown]
	v_mul_f64 v[4:5], v[6:7], v[13:14]
	v_fma_f64 v[23:24], v[8:9], v[13:14], v[2:3]
	v_fma_f64 v[13:14], v[8:9], v[13:14], -v[2:3]
	v_fma_f64 v[25:26], v[0:1], 0.5, v[4:5]
	v_fma_f64 v[4:5], v[0:1], 0.5, -v[4:5]
	v_fma_f64 v[2:3], -v[11:12], v[6:7], v[23:24]
	v_fma_f64 v[6:7], -v[11:12], v[6:7], v[13:14]
	v_fma_f64 v[0:1], v[8:9], v[11:12], v[25:26]
	v_fma_f64 v[4:5], -v[8:9], v[11:12], v[4:5]
	s_clause 0x1
	buffer_load_dword v8, off, s[28:31], 0 offset:16
	buffer_load_dword v9, off, s[28:31], 0 offset:20
	s_waitcnt vmcnt(0)
	v_mov_b32_e32 v9, v167
	ds_write_b128 v249, v[0:3]
	ds_write_b128 v10, v[4:7] offset:32640
	ds_read_b128 v[0:3], v212
	ds_read_b128 v[4:7], v10 offset:31680
	s_waitcnt lgkmcnt(0)
	v_add_f64 v[23:24], v[2:3], v[6:7]
	v_add_f64 v[2:3], v[2:3], -v[6:7]
	v_mul_f64 v[2:3], v[2:3], 0.5
	v_lshlrev_b64 v[8:9], 4, v[8:9]
	v_add_co_u32 v8, s0, s1, v8
	v_add_co_ci_u32_e64 v9, s0, s4, v9, s0
	global_load_dwordx4 v[11:14], v[8:9], off
	v_add_f64 v[8:9], v[0:1], -v[4:5]
	v_add_f64 v[0:1], v[0:1], v[4:5]
	v_mul_f64 v[6:7], v[8:9], 0.5
	v_mul_f64 v[8:9], v[23:24], 0.5
	v_mul_f64 v[4:5], v[6:7], v[21:22]
	v_fma_f64 v[23:24], v[8:9], v[21:22], v[2:3]
	v_fma_f64 v[21:22], v[8:9], v[21:22], -v[2:3]
	v_fma_f64 v[25:26], v[0:1], 0.5, v[4:5]
	v_fma_f64 v[4:5], v[0:1], 0.5, -v[4:5]
	v_fma_f64 v[2:3], -v[19:20], v[6:7], v[23:24]
	v_fma_f64 v[6:7], -v[19:20], v[6:7], v[21:22]
	v_fma_f64 v[0:1], v[8:9], v[19:20], v[25:26]
	v_fma_f64 v[4:5], -v[8:9], v[19:20], v[4:5]
	v_lshlrev_b64 v[8:9], 4, v[166:167]
	v_add_nc_u32_e32 v166, 0x1a4, v162
	ds_write_b128 v212, v[0:3]
	ds_write_b128 v10, v[4:7] offset:31680
	v_add_co_u32 v8, s0, s1, v8
	ds_read_b128 v[0:3], v209 offset:3840
	ds_read_b128 v[4:7], v10 offset:30720
	v_add_co_ci_u32_e64 v9, s0, s4, v9, s0
	global_load_dwordx4 v[19:22], v[8:9], off
	s_waitcnt lgkmcnt(0)
	v_add_f64 v[8:9], v[0:1], -v[4:5]
	v_add_f64 v[23:24], v[2:3], v[6:7]
	v_add_f64 v[2:3], v[2:3], -v[6:7]
	v_add_f64 v[0:1], v[0:1], v[4:5]
	v_mul_f64 v[6:7], v[8:9], 0.5
	v_mul_f64 v[8:9], v[23:24], 0.5
	v_mul_f64 v[2:3], v[2:3], 0.5
	v_mul_f64 v[4:5], v[6:7], v[17:18]
	v_fma_f64 v[23:24], v[8:9], v[17:18], v[2:3]
	v_fma_f64 v[17:18], v[8:9], v[17:18], -v[2:3]
	v_fma_f64 v[25:26], v[0:1], 0.5, v[4:5]
	v_fma_f64 v[4:5], v[0:1], 0.5, -v[4:5]
	v_fma_f64 v[2:3], -v[15:16], v[6:7], v[23:24]
	v_fma_f64 v[6:7], -v[15:16], v[6:7], v[17:18]
	v_fma_f64 v[0:1], v[8:9], v[15:16], v[25:26]
	v_fma_f64 v[4:5], -v[8:9], v[15:16], v[4:5]
	v_lshlrev_b64 v[8:9], 4, v[166:167]
	v_add_nc_u32_e32 v166, 0x1e0, v162
	ds_write_b128 v209, v[0:3] offset:3840
	ds_write_b128 v10, v[4:7] offset:30720
	v_add_co_u32 v8, s0, s1, v8
	ds_read_b128 v[0:3], v209 offset:4800
	ds_read_b128 v[4:7], v10 offset:29760
	v_add_co_ci_u32_e64 v9, s0, s4, v9, s0
	global_load_dwordx4 v[15:18], v[8:9], off
	s_waitcnt lgkmcnt(0)
	v_add_f64 v[8:9], v[0:1], -v[4:5]
	v_add_f64 v[23:24], v[2:3], v[6:7]
	v_add_f64 v[2:3], v[2:3], -v[6:7]
	v_add_f64 v[0:1], v[0:1], v[4:5]
	v_mul_f64 v[6:7], v[8:9], 0.5
	v_mul_f64 v[8:9], v[23:24], 0.5
	v_mul_f64 v[2:3], v[2:3], 0.5
	s_waitcnt vmcnt(2)
	v_mul_f64 v[4:5], v[6:7], v[13:14]
	v_fma_f64 v[23:24], v[8:9], v[13:14], v[2:3]
	v_fma_f64 v[13:14], v[8:9], v[13:14], -v[2:3]
	v_fma_f64 v[25:26], v[0:1], 0.5, v[4:5]
	v_fma_f64 v[4:5], v[0:1], 0.5, -v[4:5]
	v_fma_f64 v[2:3], -v[11:12], v[6:7], v[23:24]
	v_fma_f64 v[6:7], -v[11:12], v[6:7], v[13:14]
	v_fma_f64 v[0:1], v[8:9], v[11:12], v[25:26]
	v_fma_f64 v[4:5], -v[8:9], v[11:12], v[4:5]
	v_lshlrev_b64 v[8:9], 4, v[166:167]
	v_add_nc_u32_e32 v166, 0x21c, v162
	ds_write_b128 v209, v[0:3] offset:4800
	ds_write_b128 v10, v[4:7] offset:29760
	v_add_co_u32 v8, s0, s1, v8
	ds_read_b128 v[0:3], v209 offset:5760
	ds_read_b128 v[4:7], v10 offset:28800
	v_add_co_ci_u32_e64 v9, s0, s4, v9, s0
	global_load_dwordx4 v[11:14], v[8:9], off
	s_waitcnt lgkmcnt(0)
	v_add_f64 v[8:9], v[0:1], -v[4:5]
	v_add_f64 v[23:24], v[2:3], v[6:7]
	v_add_f64 v[2:3], v[2:3], -v[6:7]
	v_add_f64 v[0:1], v[0:1], v[4:5]
	v_mul_f64 v[6:7], v[8:9], 0.5
	v_mul_f64 v[8:9], v[23:24], 0.5
	v_mul_f64 v[2:3], v[2:3], 0.5
	s_waitcnt vmcnt(2)
	;; [unrolled: 27-line block ×8, first 2 shown]
	v_mul_f64 v[4:5], v[6:7], v[21:22]
	v_fma_f64 v[23:24], v[8:9], v[21:22], v[2:3]
	v_fma_f64 v[21:22], v[8:9], v[21:22], -v[2:3]
	v_fma_f64 v[25:26], v[0:1], 0.5, v[4:5]
	v_fma_f64 v[4:5], v[0:1], 0.5, -v[4:5]
	v_fma_f64 v[2:3], -v[19:20], v[6:7], v[23:24]
	v_fma_f64 v[6:7], -v[19:20], v[6:7], v[21:22]
	v_fma_f64 v[0:1], v[8:9], v[19:20], v[25:26]
	v_fma_f64 v[4:5], -v[8:9], v[19:20], v[4:5]
	v_lshlrev_b64 v[8:9], 4, v[166:167]
	ds_write_b128 v209, v[0:3] offset:11520
	ds_write_b128 v10, v[4:7] offset:23040
	v_add_co_u32 v8, s0, s1, v8
	ds_read_b128 v[0:3], v209 offset:12480
	ds_read_b128 v[4:7], v10 offset:22080
	v_add_co_ci_u32_e64 v9, s0, s4, v9, s0
	v_or_b32_e32 v166, 0x3c0, v162
	global_load_dwordx4 v[19:22], v[8:9], off
	s_waitcnt lgkmcnt(0)
	v_add_f64 v[8:9], v[0:1], -v[4:5]
	v_add_f64 v[23:24], v[2:3], v[6:7]
	v_add_f64 v[2:3], v[2:3], -v[6:7]
	v_add_f64 v[0:1], v[0:1], v[4:5]
	v_mul_f64 v[6:7], v[8:9], 0.5
	v_mul_f64 v[8:9], v[23:24], 0.5
	;; [unrolled: 1-line block ×3, first 2 shown]
	s_waitcnt vmcnt(2)
	v_mul_f64 v[4:5], v[6:7], v[17:18]
	v_fma_f64 v[23:24], v[8:9], v[17:18], v[2:3]
	v_fma_f64 v[17:18], v[8:9], v[17:18], -v[2:3]
	v_fma_f64 v[25:26], v[0:1], 0.5, v[4:5]
	v_fma_f64 v[4:5], v[0:1], 0.5, -v[4:5]
	v_fma_f64 v[2:3], -v[15:16], v[6:7], v[23:24]
	v_fma_f64 v[6:7], -v[15:16], v[6:7], v[17:18]
	v_fma_f64 v[0:1], v[8:9], v[15:16], v[25:26]
	v_fma_f64 v[4:5], -v[8:9], v[15:16], v[4:5]
	v_lshlrev_b64 v[8:9], 4, v[166:167]
	ds_write_b128 v209, v[0:3] offset:12480
	ds_write_b128 v10, v[4:7] offset:22080
	v_add_co_u32 v8, s0, s1, v8
	ds_read_b128 v[0:3], v209 offset:13440
	ds_read_b128 v[4:7], v10 offset:21120
	v_add_co_ci_u32_e64 v9, s0, s4, v9, s0
	v_add_nc_u32_e32 v166, 0x3fc, v162
	global_load_dwordx4 v[15:18], v[8:9], off
	s_waitcnt lgkmcnt(0)
	v_add_f64 v[8:9], v[0:1], -v[4:5]
	v_add_f64 v[23:24], v[2:3], v[6:7]
	v_add_f64 v[2:3], v[2:3], -v[6:7]
	v_add_f64 v[0:1], v[0:1], v[4:5]
	v_mul_f64 v[6:7], v[8:9], 0.5
	v_mul_f64 v[8:9], v[23:24], 0.5
	;; [unrolled: 1-line block ×3, first 2 shown]
	s_waitcnt vmcnt(2)
	v_mul_f64 v[4:5], v[6:7], v[13:14]
	v_fma_f64 v[23:24], v[8:9], v[13:14], v[2:3]
	v_fma_f64 v[13:14], v[8:9], v[13:14], -v[2:3]
	v_fma_f64 v[25:26], v[0:1], 0.5, v[4:5]
	v_fma_f64 v[4:5], v[0:1], 0.5, -v[4:5]
	v_fma_f64 v[2:3], -v[11:12], v[6:7], v[23:24]
	v_fma_f64 v[6:7], -v[11:12], v[6:7], v[13:14]
	v_fma_f64 v[0:1], v[8:9], v[11:12], v[25:26]
	v_fma_f64 v[4:5], -v[8:9], v[11:12], v[4:5]
	v_lshlrev_b64 v[8:9], 4, v[166:167]
	ds_write_b128 v209, v[0:3] offset:13440
	ds_write_b128 v10, v[4:7] offset:21120
	v_add_co_u32 v8, s0, s1, v8
	ds_read_b128 v[0:3], v209 offset:14400
	ds_read_b128 v[4:7], v10 offset:20160
	v_add_co_ci_u32_e64 v9, s0, s4, v9, s0
	global_load_dwordx4 v[11:14], v[8:9], off
	s_waitcnt lgkmcnt(0)
	v_add_f64 v[8:9], v[0:1], -v[4:5]
	v_add_f64 v[23:24], v[2:3], v[6:7]
	v_add_f64 v[2:3], v[2:3], -v[6:7]
	v_add_f64 v[0:1], v[0:1], v[4:5]
	v_mul_f64 v[6:7], v[8:9], 0.5
	v_mul_f64 v[8:9], v[23:24], 0.5
	;; [unrolled: 1-line block ×3, first 2 shown]
	s_waitcnt vmcnt(2)
	v_mul_f64 v[4:5], v[6:7], v[21:22]
	v_fma_f64 v[23:24], v[8:9], v[21:22], v[2:3]
	v_fma_f64 v[21:22], v[8:9], v[21:22], -v[2:3]
	v_fma_f64 v[25:26], v[0:1], 0.5, v[4:5]
	v_fma_f64 v[4:5], v[0:1], 0.5, -v[4:5]
	v_fma_f64 v[2:3], -v[19:20], v[6:7], v[23:24]
	v_fma_f64 v[6:7], -v[19:20], v[6:7], v[21:22]
	v_fma_f64 v[0:1], v[8:9], v[19:20], v[25:26]
	v_fma_f64 v[4:5], -v[8:9], v[19:20], v[4:5]
	ds_write_b128 v209, v[0:3] offset:14400
	ds_write_b128 v10, v[4:7] offset:20160
	ds_read_b128 v[0:3], v209 offset:15360
	ds_read_b128 v[4:7], v10 offset:19200
	s_waitcnt lgkmcnt(0)
	v_add_f64 v[8:9], v[0:1], -v[4:5]
	v_add_f64 v[19:20], v[2:3], v[6:7]
	v_add_f64 v[2:3], v[2:3], -v[6:7]
	v_add_f64 v[0:1], v[0:1], v[4:5]
	v_mul_f64 v[6:7], v[8:9], 0.5
	v_mul_f64 v[8:9], v[19:20], 0.5
	;; [unrolled: 1-line block ×3, first 2 shown]
	s_waitcnt vmcnt(1)
	v_mul_f64 v[4:5], v[6:7], v[17:18]
	v_fma_f64 v[19:20], v[8:9], v[17:18], v[2:3]
	v_fma_f64 v[17:18], v[8:9], v[17:18], -v[2:3]
	v_fma_f64 v[21:22], v[0:1], 0.5, v[4:5]
	v_fma_f64 v[4:5], v[0:1], 0.5, -v[4:5]
	v_fma_f64 v[2:3], -v[15:16], v[6:7], v[19:20]
	v_fma_f64 v[6:7], -v[15:16], v[6:7], v[17:18]
	v_fma_f64 v[0:1], v[8:9], v[15:16], v[21:22]
	v_fma_f64 v[4:5], -v[8:9], v[15:16], v[4:5]
	ds_write_b128 v209, v[0:3] offset:15360
	ds_write_b128 v10, v[4:7] offset:19200
	ds_read_b128 v[0:3], v209 offset:16320
	ds_read_b128 v[4:7], v10 offset:18240
	s_waitcnt lgkmcnt(0)
	v_add_f64 v[8:9], v[0:1], -v[4:5]
	v_add_f64 v[15:16], v[2:3], v[6:7]
	v_add_f64 v[2:3], v[2:3], -v[6:7]
	v_add_f64 v[0:1], v[0:1], v[4:5]
	v_mul_f64 v[6:7], v[8:9], 0.5
	v_mul_f64 v[8:9], v[15:16], 0.5
	;; [unrolled: 1-line block ×3, first 2 shown]
	s_waitcnt vmcnt(0)
	v_mul_f64 v[4:5], v[6:7], v[13:14]
	v_fma_f64 v[15:16], v[8:9], v[13:14], v[2:3]
	v_fma_f64 v[13:14], v[8:9], v[13:14], -v[2:3]
	v_fma_f64 v[17:18], v[0:1], 0.5, v[4:5]
	v_fma_f64 v[4:5], v[0:1], 0.5, -v[4:5]
	v_fma_f64 v[2:3], -v[11:12], v[6:7], v[15:16]
	v_fma_f64 v[6:7], -v[11:12], v[6:7], v[13:14]
	v_fma_f64 v[0:1], v[8:9], v[11:12], v[17:18]
	v_fma_f64 v[4:5], -v[8:9], v[11:12], v[4:5]
	ds_write_b128 v209, v[0:3] offset:16320
	ds_write_b128 v10, v[4:7] offset:18240
	s_waitcnt lgkmcnt(0)
	s_barrier
	buffer_gl0_inv
	s_and_saveexec_b32 s0, vcc_lo
	s_cbranch_execz .LBB0_22
; %bb.20:
	v_mul_lo_u32 v0, s3, v168
	v_mul_lo_u32 v3, s2, v169
	v_mad_u64_u32 v[1:2], null, s2, v168, 0
	v_mov_b32_e32 v163, v167
	v_lshlrev_b64 v[11:12], 4, v[164:165]
	v_add_nc_u32_e32 v166, 60, v162
	v_lshlrev_b64 v[13:14], 4, v[162:163]
	v_add3_u32 v2, v2, v3, v0
	v_lshl_add_u32 v0, v162, 4, 0
	v_lshlrev_b64 v[15:16], 4, v[166:167]
	v_add_nc_u32_e32 v166, 0x78, v162
	v_lshlrev_b64 v[1:2], 4, v[1:2]
	ds_read_b128 v[3:6], v0
	ds_read_b128 v[7:10], v0 offset:960
	v_lshlrev_b64 v[19:20], 4, v[166:167]
	v_add_nc_u32_e32 v166, 0xb4, v162
	v_add_co_u32 v1, vcc_lo, s10, v1
	v_add_co_ci_u32_e32 v2, vcc_lo, s11, v2, vcc_lo
	v_lshlrev_b64 v[21:22], 4, v[166:167]
	v_add_co_u32 v1, vcc_lo, v1, v11
	v_add_co_ci_u32_e32 v2, vcc_lo, v2, v12, vcc_lo
	v_add_nc_u32_e32 v166, 0xf0, v162
	v_add_co_u32 v17, vcc_lo, v1, v13
	v_add_co_ci_u32_e32 v18, vcc_lo, v2, v14, vcc_lo
	v_add_co_u32 v15, vcc_lo, v1, v15
	v_add_co_ci_u32_e32 v16, vcc_lo, v2, v16, vcc_lo
	ds_read_b128 v[11:14], v0 offset:33600
	s_waitcnt lgkmcnt(2)
	global_store_dwordx4 v[17:18], v[3:6], off
	ds_read_b128 v[3:6], v0 offset:1920
	s_waitcnt lgkmcnt(2)
	global_store_dwordx4 v[15:16], v[7:10], off
	ds_read_b128 v[7:10], v0 offset:2880
	ds_read_b128 v[15:18], v0 offset:3840
	v_add_co_u32 v19, vcc_lo, v1, v19
	v_lshlrev_b64 v[23:24], 4, v[166:167]
	v_add_co_ci_u32_e32 v20, vcc_lo, v2, v20, vcc_lo
	v_add_co_u32 v21, vcc_lo, v1, v21
	v_add_co_ci_u32_e32 v22, vcc_lo, v2, v22, vcc_lo
	v_add_co_u32 v23, vcc_lo, v1, v23
	v_add_nc_u32_e32 v166, 0x12c, v162
	v_add_co_ci_u32_e32 v24, vcc_lo, v2, v24, vcc_lo
	s_waitcnt lgkmcnt(2)
	global_store_dwordx4 v[19:20], v[3:6], off
	v_lshlrev_b64 v[19:20], 4, v[166:167]
	v_add_nc_u32_e32 v166, 0x168, v162
	s_waitcnt lgkmcnt(1)
	global_store_dwordx4 v[21:22], v[7:10], off
	s_waitcnt lgkmcnt(0)
	global_store_dwordx4 v[23:24], v[15:18], off
	ds_read_b128 v[3:6], v0 offset:4800
	ds_read_b128 v[7:10], v0 offset:5760
	;; [unrolled: 1-line block ×3, first 2 shown]
	v_lshlrev_b64 v[21:22], 4, v[166:167]
	v_add_nc_u32_e32 v166, 0x1a4, v162
	v_add_co_u32 v19, vcc_lo, v1, v19
	v_add_co_ci_u32_e32 v20, vcc_lo, v2, v20, vcc_lo
	v_lshlrev_b64 v[23:24], 4, v[166:167]
	v_add_co_u32 v21, vcc_lo, v1, v21
	v_add_co_ci_u32_e32 v22, vcc_lo, v2, v22, vcc_lo
	v_add_nc_u32_e32 v166, 0x1e0, v162
	v_add_co_u32 v23, vcc_lo, v1, v23
	v_add_co_ci_u32_e32 v24, vcc_lo, v2, v24, vcc_lo
	s_waitcnt lgkmcnt(2)
	global_store_dwordx4 v[19:20], v[3:6], off
	s_waitcnt lgkmcnt(1)
	global_store_dwordx4 v[21:22], v[7:10], off
	v_lshlrev_b64 v[25:26], 4, v[166:167]
	v_add_nc_u32_e32 v166, 0x21c, v162
	ds_read_b128 v[3:6], v0 offset:7680
	s_waitcnt lgkmcnt(1)
	global_store_dwordx4 v[23:24], v[15:18], off
	ds_read_b128 v[7:10], v0 offset:8640
	ds_read_b128 v[15:18], v0 offset:9600
	v_lshlrev_b64 v[19:20], 4, v[166:167]
	v_add_nc_u32_e32 v166, 0x258, v162
	v_add_co_u32 v21, vcc_lo, v1, v25
	v_add_co_ci_u32_e32 v22, vcc_lo, v2, v26, vcc_lo
	v_lshlrev_b64 v[23:24], 4, v[166:167]
	v_add_co_u32 v19, vcc_lo, v1, v19
	v_add_co_ci_u32_e32 v20, vcc_lo, v2, v20, vcc_lo
	v_add_nc_u32_e32 v166, 0x294, v162
	v_add_co_u32 v23, vcc_lo, v1, v23
	v_add_co_ci_u32_e32 v24, vcc_lo, v2, v24, vcc_lo
	s_waitcnt lgkmcnt(2)
	global_store_dwordx4 v[21:22], v[3:6], off
	v_lshlrev_b64 v[21:22], 4, v[166:167]
	v_add_nc_u32_e32 v166, 0x2d0, v162
	s_waitcnt lgkmcnt(1)
	global_store_dwordx4 v[19:20], v[7:10], off
	s_waitcnt lgkmcnt(0)
	global_store_dwordx4 v[23:24], v[15:18], off
	ds_read_b128 v[3:6], v0 offset:10560
	ds_read_b128 v[7:10], v0 offset:11520
	;; [unrolled: 1-line block ×3, first 2 shown]
	v_lshlrev_b64 v[19:20], 4, v[166:167]
	v_add_nc_u32_e32 v166, 0x30c, v162
	v_add_co_u32 v21, vcc_lo, v1, v21
	v_add_co_ci_u32_e32 v22, vcc_lo, v2, v22, vcc_lo
	v_lshlrev_b64 v[23:24], 4, v[166:167]
	v_add_co_u32 v19, vcc_lo, v1, v19
	v_add_co_ci_u32_e32 v20, vcc_lo, v2, v20, vcc_lo
	v_add_nc_u32_e32 v166, 0x348, v162
	v_add_co_u32 v23, vcc_lo, v1, v23
	v_add_co_ci_u32_e32 v24, vcc_lo, v2, v24, vcc_lo
	v_lshlrev_b64 v[25:26], 4, v[166:167]
	v_add_nc_u32_e32 v166, 0x384, v162
	s_waitcnt lgkmcnt(2)
	global_store_dwordx4 v[21:22], v[3:6], off
	s_waitcnt lgkmcnt(1)
	global_store_dwordx4 v[19:20], v[7:10], off
	;; [unrolled: 2-line block ×3, first 2 shown]
	ds_read_b128 v[3:6], v0 offset:13440
	ds_read_b128 v[7:10], v0 offset:14400
	;; [unrolled: 1-line block ×3, first 2 shown]
	v_lshlrev_b64 v[19:20], 4, v[166:167]
	v_add_nc_u32_e32 v166, 0x3c0, v162
	v_add_co_u32 v21, vcc_lo, v1, v25
	v_add_co_ci_u32_e32 v22, vcc_lo, v2, v26, vcc_lo
	v_lshlrev_b64 v[23:24], 4, v[166:167]
	v_add_co_u32 v19, vcc_lo, v1, v19
	v_add_co_ci_u32_e32 v20, vcc_lo, v2, v20, vcc_lo
	v_add_nc_u32_e32 v166, 0x3fc, v162
	v_add_co_u32 v23, vcc_lo, v1, v23
	v_add_co_ci_u32_e32 v24, vcc_lo, v2, v24, vcc_lo
	s_waitcnt lgkmcnt(2)
	global_store_dwordx4 v[21:22], v[3:6], off
	v_lshlrev_b64 v[21:22], 4, v[166:167]
	v_add_nc_u32_e32 v166, 0x438, v162
	s_waitcnt lgkmcnt(1)
	global_store_dwordx4 v[19:20], v[7:10], off
	s_waitcnt lgkmcnt(0)
	global_store_dwordx4 v[23:24], v[15:18], off
	ds_read_b128 v[3:6], v0 offset:16320
	ds_read_b128 v[7:10], v0 offset:17280
	;; [unrolled: 1-line block ×3, first 2 shown]
	v_lshlrev_b64 v[19:20], 4, v[166:167]
	v_add_nc_u32_e32 v166, 0x474, v162
	v_add_co_u32 v21, vcc_lo, v1, v21
	v_add_co_ci_u32_e32 v22, vcc_lo, v2, v22, vcc_lo
	v_lshlrev_b64 v[23:24], 4, v[166:167]
	v_add_co_u32 v19, vcc_lo, v1, v19
	v_add_co_ci_u32_e32 v20, vcc_lo, v2, v20, vcc_lo
	v_add_nc_u32_e32 v166, 0x4b0, v162
	v_add_co_u32 v23, vcc_lo, v1, v23
	v_add_co_ci_u32_e32 v24, vcc_lo, v2, v24, vcc_lo
	s_waitcnt lgkmcnt(2)
	global_store_dwordx4 v[21:22], v[3:6], off
	s_waitcnt lgkmcnt(1)
	global_store_dwordx4 v[19:20], v[7:10], off
	v_lshlrev_b64 v[25:26], 4, v[166:167]
	v_add_nc_u32_e32 v166, 0x4ec, v162
	ds_read_b128 v[3:6], v0 offset:19200
	s_waitcnt lgkmcnt(1)
	global_store_dwordx4 v[23:24], v[15:18], off
	ds_read_b128 v[7:10], v0 offset:20160
	ds_read_b128 v[15:18], v0 offset:21120
	v_lshlrev_b64 v[19:20], 4, v[166:167]
	v_add_nc_u32_e32 v166, 0x528, v162
	v_add_co_u32 v21, vcc_lo, v1, v25
	v_add_co_ci_u32_e32 v22, vcc_lo, v2, v26, vcc_lo
	v_lshlrev_b64 v[23:24], 4, v[166:167]
	v_add_co_u32 v19, vcc_lo, v1, v19
	v_add_co_ci_u32_e32 v20, vcc_lo, v2, v20, vcc_lo
	v_add_nc_u32_e32 v166, 0x564, v162
	v_add_co_u32 v23, vcc_lo, v1, v23
	v_add_co_ci_u32_e32 v24, vcc_lo, v2, v24, vcc_lo
	s_waitcnt lgkmcnt(2)
	global_store_dwordx4 v[21:22], v[3:6], off
	v_lshlrev_b64 v[21:22], 4, v[166:167]
	v_add_nc_u32_e32 v166, 0x5a0, v162
	s_waitcnt lgkmcnt(1)
	global_store_dwordx4 v[19:20], v[7:10], off
	s_waitcnt lgkmcnt(0)
	global_store_dwordx4 v[23:24], v[15:18], off
	ds_read_b128 v[3:6], v0 offset:22080
	ds_read_b128 v[7:10], v0 offset:23040
	;; [unrolled: 1-line block ×3, first 2 shown]
	v_lshlrev_b64 v[19:20], 4, v[166:167]
	v_add_nc_u32_e32 v166, 0x5dc, v162
	v_add_co_u32 v21, vcc_lo, v1, v21
	v_add_co_ci_u32_e32 v22, vcc_lo, v2, v22, vcc_lo
	v_lshlrev_b64 v[23:24], 4, v[166:167]
	v_add_co_u32 v19, vcc_lo, v1, v19
	v_add_co_ci_u32_e32 v20, vcc_lo, v2, v20, vcc_lo
	v_add_nc_u32_e32 v166, 0x618, v162
	v_add_co_u32 v23, vcc_lo, v1, v23
	v_add_co_ci_u32_e32 v24, vcc_lo, v2, v24, vcc_lo
	v_lshlrev_b64 v[25:26], 4, v[166:167]
	v_add_nc_u32_e32 v166, 0x654, v162
	s_waitcnt lgkmcnt(2)
	global_store_dwordx4 v[21:22], v[3:6], off
	s_waitcnt lgkmcnt(1)
	global_store_dwordx4 v[19:20], v[7:10], off
	;; [unrolled: 2-line block ×3, first 2 shown]
	ds_read_b128 v[3:6], v0 offset:24960
	ds_read_b128 v[7:10], v0 offset:25920
	;; [unrolled: 1-line block ×3, first 2 shown]
	v_lshlrev_b64 v[19:20], 4, v[166:167]
	v_add_nc_u32_e32 v166, 0x690, v162
	v_add_co_u32 v21, vcc_lo, v1, v25
	v_add_co_ci_u32_e32 v22, vcc_lo, v2, v26, vcc_lo
	v_lshlrev_b64 v[23:24], 4, v[166:167]
	v_add_co_u32 v19, vcc_lo, v1, v19
	v_add_co_ci_u32_e32 v20, vcc_lo, v2, v20, vcc_lo
	v_add_nc_u32_e32 v166, 0x6cc, v162
	v_add_co_u32 v23, vcc_lo, v1, v23
	v_add_co_ci_u32_e32 v24, vcc_lo, v2, v24, vcc_lo
	s_waitcnt lgkmcnt(2)
	global_store_dwordx4 v[21:22], v[3:6], off
	s_waitcnt lgkmcnt(1)
	global_store_dwordx4 v[19:20], v[7:10], off
	;; [unrolled: 2-line block ×3, first 2 shown]
	v_lshlrev_b64 v[21:22], 4, v[166:167]
	v_add_nc_u32_e32 v166, 0x708, v162
	ds_read_b128 v[3:6], v0 offset:27840
	ds_read_b128 v[7:10], v0 offset:28800
	ds_read_b128 v[15:18], v0 offset:29760
	v_lshlrev_b64 v[19:20], 4, v[166:167]
	v_add_nc_u32_e32 v166, 0x744, v162
	v_add_co_u32 v21, vcc_lo, v1, v21
	v_add_co_ci_u32_e32 v22, vcc_lo, v2, v22, vcc_lo
	v_lshlrev_b64 v[23:24], 4, v[166:167]
	v_add_nc_u32_e32 v166, 0x780, v162
	v_add_co_u32 v19, vcc_lo, v1, v19
	v_add_co_ci_u32_e32 v20, vcc_lo, v2, v20, vcc_lo
	;; [unrolled: 4-line block ×3, first 2 shown]
	s_waitcnt lgkmcnt(2)
	global_store_dwordx4 v[21:22], v[3:6], off
	s_waitcnt lgkmcnt(1)
	global_store_dwordx4 v[19:20], v[7:10], off
	v_lshlrev_b64 v[19:20], 4, v[166:167]
	v_add_nc_u32_e32 v166, 0x7f8, v162
	s_waitcnt lgkmcnt(0)
	global_store_dwordx4 v[23:24], v[15:18], off
	ds_read_b128 v[3:6], v0 offset:30720
	ds_read_b128 v[7:10], v0 offset:31680
	;; [unrolled: 1-line block ×3, first 2 shown]
	v_add_co_u32 v21, vcc_lo, v1, v25
	v_lshlrev_b64 v[23:24], 4, v[166:167]
	v_add_nc_u32_e32 v166, 0x834, v162
	v_add_co_ci_u32_e32 v22, vcc_lo, v2, v26, vcc_lo
	v_add_co_u32 v19, vcc_lo, v1, v19
	v_lshlrev_b64 v[25:26], 4, v[166:167]
	v_add_co_ci_u32_e32 v20, vcc_lo, v2, v20, vcc_lo
	v_add_co_u32 v23, vcc_lo, v1, v23
	v_add_co_ci_u32_e32 v24, vcc_lo, v2, v24, vcc_lo
	v_add_co_u32 v25, vcc_lo, v1, v25
	v_add_co_ci_u32_e32 v26, vcc_lo, v2, v26, vcc_lo
	v_cmp_eq_u32_e32 vcc_lo, 59, v162
	s_waitcnt lgkmcnt(2)
	global_store_dwordx4 v[21:22], v[3:6], off
	s_waitcnt lgkmcnt(1)
	global_store_dwordx4 v[19:20], v[7:10], off
	;; [unrolled: 2-line block ×3, first 2 shown]
	global_store_dwordx4 v[25:26], v[11:14], off
	s_and_b32 exec_lo, exec_lo, vcc_lo
	s_cbranch_execz .LBB0_22
; %bb.21:
	v_mov_b32_e32 v0, 0
	ds_read_b128 v[3:6], v0 offset:34560
	v_add_co_u32 v0, vcc_lo, 0x8000, v1
	v_add_co_ci_u32_e32 v1, vcc_lo, 0, v2, vcc_lo
	s_waitcnt lgkmcnt(0)
	global_store_dwordx4 v[0:1], v[3:6], off offset:1792
.LBB0_22:
	s_endpgm
	.section	.rodata,"a",@progbits
	.p2align	6, 0x0
	.amdhsa_kernel fft_rtc_fwd_len2160_factors_10_6_6_6_wgs_60_tpt_60_halfLds_dp_op_CI_CI_unitstride_sbrr_R2C_dirReg
		.amdhsa_group_segment_fixed_size 0
		.amdhsa_private_segment_fixed_size 28
		.amdhsa_kernarg_size 104
		.amdhsa_user_sgpr_count 6
		.amdhsa_user_sgpr_private_segment_buffer 1
		.amdhsa_user_sgpr_dispatch_ptr 0
		.amdhsa_user_sgpr_queue_ptr 0
		.amdhsa_user_sgpr_kernarg_segment_ptr 1
		.amdhsa_user_sgpr_dispatch_id 0
		.amdhsa_user_sgpr_flat_scratch_init 0
		.amdhsa_user_sgpr_private_segment_size 0
		.amdhsa_wavefront_size32 1
		.amdhsa_uses_dynamic_stack 0
		.amdhsa_system_sgpr_private_segment_wavefront_offset 1
		.amdhsa_system_sgpr_workgroup_id_x 1
		.amdhsa_system_sgpr_workgroup_id_y 0
		.amdhsa_system_sgpr_workgroup_id_z 0
		.amdhsa_system_sgpr_workgroup_info 0
		.amdhsa_system_vgpr_workitem_id 0
		.amdhsa_next_free_vgpr 256
		.amdhsa_next_free_sgpr 32
		.amdhsa_reserve_vcc 1
		.amdhsa_reserve_flat_scratch 0
		.amdhsa_float_round_mode_32 0
		.amdhsa_float_round_mode_16_64 0
		.amdhsa_float_denorm_mode_32 3
		.amdhsa_float_denorm_mode_16_64 3
		.amdhsa_dx10_clamp 1
		.amdhsa_ieee_mode 1
		.amdhsa_fp16_overflow 0
		.amdhsa_workgroup_processor_mode 1
		.amdhsa_memory_ordered 1
		.amdhsa_forward_progress 0
		.amdhsa_shared_vgpr_count 0
		.amdhsa_exception_fp_ieee_invalid_op 0
		.amdhsa_exception_fp_denorm_src 0
		.amdhsa_exception_fp_ieee_div_zero 0
		.amdhsa_exception_fp_ieee_overflow 0
		.amdhsa_exception_fp_ieee_underflow 0
		.amdhsa_exception_fp_ieee_inexact 0
		.amdhsa_exception_int_div_zero 0
	.end_amdhsa_kernel
	.text
.Lfunc_end0:
	.size	fft_rtc_fwd_len2160_factors_10_6_6_6_wgs_60_tpt_60_halfLds_dp_op_CI_CI_unitstride_sbrr_R2C_dirReg, .Lfunc_end0-fft_rtc_fwd_len2160_factors_10_6_6_6_wgs_60_tpt_60_halfLds_dp_op_CI_CI_unitstride_sbrr_R2C_dirReg
                                        ; -- End function
	.section	.AMDGPU.csdata,"",@progbits
; Kernel info:
; codeLenInByte = 27816
; NumSgprs: 34
; NumVgprs: 256
; ScratchSize: 28
; MemoryBound: 0
; FloatMode: 240
; IeeeMode: 1
; LDSByteSize: 0 bytes/workgroup (compile time only)
; SGPRBlocks: 4
; VGPRBlocks: 31
; NumSGPRsForWavesPerEU: 34
; NumVGPRsForWavesPerEU: 256
; Occupancy: 4
; WaveLimiterHint : 1
; COMPUTE_PGM_RSRC2:SCRATCH_EN: 1
; COMPUTE_PGM_RSRC2:USER_SGPR: 6
; COMPUTE_PGM_RSRC2:TRAP_HANDLER: 0
; COMPUTE_PGM_RSRC2:TGID_X_EN: 1
; COMPUTE_PGM_RSRC2:TGID_Y_EN: 0
; COMPUTE_PGM_RSRC2:TGID_Z_EN: 0
; COMPUTE_PGM_RSRC2:TIDIG_COMP_CNT: 0
	.text
	.p2alignl 6, 3214868480
	.fill 48, 4, 3214868480
	.type	__hip_cuid_46805356aa6f047a,@object ; @__hip_cuid_46805356aa6f047a
	.section	.bss,"aw",@nobits
	.globl	__hip_cuid_46805356aa6f047a
__hip_cuid_46805356aa6f047a:
	.byte	0                               ; 0x0
	.size	__hip_cuid_46805356aa6f047a, 1

	.ident	"AMD clang version 19.0.0git (https://github.com/RadeonOpenCompute/llvm-project roc-6.4.0 25133 c7fe45cf4b819c5991fe208aaa96edf142730f1d)"
	.section	".note.GNU-stack","",@progbits
	.addrsig
	.addrsig_sym __hip_cuid_46805356aa6f047a
	.amdgpu_metadata
---
amdhsa.kernels:
  - .args:
      - .actual_access:  read_only
        .address_space:  global
        .offset:         0
        .size:           8
        .value_kind:     global_buffer
      - .offset:         8
        .size:           8
        .value_kind:     by_value
      - .actual_access:  read_only
        .address_space:  global
        .offset:         16
        .size:           8
        .value_kind:     global_buffer
      - .actual_access:  read_only
        .address_space:  global
        .offset:         24
        .size:           8
        .value_kind:     global_buffer
      - .actual_access:  read_only
        .address_space:  global
        .offset:         32
        .size:           8
        .value_kind:     global_buffer
      - .offset:         40
        .size:           8
        .value_kind:     by_value
      - .actual_access:  read_only
        .address_space:  global
        .offset:         48
        .size:           8
        .value_kind:     global_buffer
      - .actual_access:  read_only
        .address_space:  global
        .offset:         56
        .size:           8
        .value_kind:     global_buffer
      - .offset:         64
        .size:           4
        .value_kind:     by_value
      - .actual_access:  read_only
        .address_space:  global
        .offset:         72
        .size:           8
        .value_kind:     global_buffer
      - .actual_access:  read_only
        .address_space:  global
        .offset:         80
        .size:           8
        .value_kind:     global_buffer
      - .actual_access:  read_only
        .address_space:  global
        .offset:         88
        .size:           8
        .value_kind:     global_buffer
      - .actual_access:  write_only
        .address_space:  global
        .offset:         96
        .size:           8
        .value_kind:     global_buffer
    .group_segment_fixed_size: 0
    .kernarg_segment_align: 8
    .kernarg_segment_size: 104
    .language:       OpenCL C
    .language_version:
      - 2
      - 0
    .max_flat_workgroup_size: 60
    .name:           fft_rtc_fwd_len2160_factors_10_6_6_6_wgs_60_tpt_60_halfLds_dp_op_CI_CI_unitstride_sbrr_R2C_dirReg
    .private_segment_fixed_size: 28
    .sgpr_count:     34
    .sgpr_spill_count: 0
    .symbol:         fft_rtc_fwd_len2160_factors_10_6_6_6_wgs_60_tpt_60_halfLds_dp_op_CI_CI_unitstride_sbrr_R2C_dirReg.kd
    .uniform_work_group_size: 1
    .uses_dynamic_stack: false
    .vgpr_count:     256
    .vgpr_spill_count: 6
    .wavefront_size: 32
    .workgroup_processor_mode: 1
amdhsa.target:   amdgcn-amd-amdhsa--gfx1030
amdhsa.version:
  - 1
  - 2
...

	.end_amdgpu_metadata
